;; amdgpu-corpus repo=ROCm/rocFFT kind=compiled arch=gfx1201 opt=O3
	.text
	.amdgcn_target "amdgcn-amd-amdhsa--gfx1201"
	.amdhsa_code_object_version 6
	.protected	fft_rtc_fwd_len1092_factors_2_2_13_7_3_wgs_52_tpt_52_halfLds_dp_op_CI_CI_unitstride_sbrr_C2R_dirReg ; -- Begin function fft_rtc_fwd_len1092_factors_2_2_13_7_3_wgs_52_tpt_52_halfLds_dp_op_CI_CI_unitstride_sbrr_C2R_dirReg
	.globl	fft_rtc_fwd_len1092_factors_2_2_13_7_3_wgs_52_tpt_52_halfLds_dp_op_CI_CI_unitstride_sbrr_C2R_dirReg
	.p2align	8
	.type	fft_rtc_fwd_len1092_factors_2_2_13_7_3_wgs_52_tpt_52_halfLds_dp_op_CI_CI_unitstride_sbrr_C2R_dirReg,@function
fft_rtc_fwd_len1092_factors_2_2_13_7_3_wgs_52_tpt_52_halfLds_dp_op_CI_CI_unitstride_sbrr_C2R_dirReg: ; @fft_rtc_fwd_len1092_factors_2_2_13_7_3_wgs_52_tpt_52_halfLds_dp_op_CI_CI_unitstride_sbrr_C2R_dirReg
; %bb.0:
	s_clause 0x2
	s_load_b128 s[8:11], s[0:1], 0x0
	s_load_b128 s[4:7], s[0:1], 0x58
	;; [unrolled: 1-line block ×3, first 2 shown]
	v_mul_u32_u24_e32 v1, 0x4ed, v0
	v_mov_b32_e32 v3, 0
	s_delay_alu instid0(VALU_DEP_2) | instskip(NEXT) | instid1(VALU_DEP_1)
	v_lshrrev_b32_e32 v1, 16, v1
	v_add_nc_u32_e32 v5, ttmp9, v1
	v_mov_b32_e32 v1, 0
	v_mov_b32_e32 v2, 0
	;; [unrolled: 1-line block ×3, first 2 shown]
	s_wait_kmcnt 0x0
	v_cmp_lt_u64_e64 s2, s[10:11], 2
	s_delay_alu instid0(VALU_DEP_1)
	s_and_b32 vcc_lo, exec_lo, s2
	s_cbranch_vccnz .LBB0_8
; %bb.1:
	s_load_b64 s[2:3], s[0:1], 0x10
	v_mov_b32_e32 v1, 0
	v_mov_b32_e32 v2, 0
	s_add_nc_u64 s[16:17], s[14:15], 8
	s_add_nc_u64 s[18:19], s[12:13], 8
	s_mov_b64 s[20:21], 1
	s_delay_alu instid0(VALU_DEP_1)
	v_dual_mov_b32 v117, v2 :: v_dual_mov_b32 v116, v1
	s_wait_kmcnt 0x0
	s_add_nc_u64 s[22:23], s[2:3], 8
	s_mov_b32 s3, 0
.LBB0_2:                                ; =>This Inner Loop Header: Depth=1
	s_load_b64 s[24:25], s[22:23], 0x0
                                        ; implicit-def: $vgpr120_vgpr121
	s_mov_b32 s2, exec_lo
	s_wait_kmcnt 0x0
	v_or_b32_e32 v4, s25, v6
	s_delay_alu instid0(VALU_DEP_1)
	v_cmpx_ne_u64_e32 0, v[3:4]
	s_wait_alu 0xfffe
	s_xor_b32 s26, exec_lo, s2
	s_cbranch_execz .LBB0_4
; %bb.3:                                ;   in Loop: Header=BB0_2 Depth=1
	s_cvt_f32_u32 s2, s24
	s_cvt_f32_u32 s27, s25
	s_sub_nc_u64 s[30:31], 0, s[24:25]
	s_wait_alu 0xfffe
	s_delay_alu instid0(SALU_CYCLE_1) | instskip(SKIP_1) | instid1(SALU_CYCLE_2)
	s_fmamk_f32 s2, s27, 0x4f800000, s2
	s_wait_alu 0xfffe
	v_s_rcp_f32 s2, s2
	s_delay_alu instid0(TRANS32_DEP_1) | instskip(SKIP_1) | instid1(SALU_CYCLE_2)
	s_mul_f32 s2, s2, 0x5f7ffffc
	s_wait_alu 0xfffe
	s_mul_f32 s27, s2, 0x2f800000
	s_wait_alu 0xfffe
	s_delay_alu instid0(SALU_CYCLE_2) | instskip(SKIP_1) | instid1(SALU_CYCLE_2)
	s_trunc_f32 s27, s27
	s_wait_alu 0xfffe
	s_fmamk_f32 s2, s27, 0xcf800000, s2
	s_cvt_u32_f32 s29, s27
	s_wait_alu 0xfffe
	s_delay_alu instid0(SALU_CYCLE_1) | instskip(SKIP_1) | instid1(SALU_CYCLE_2)
	s_cvt_u32_f32 s28, s2
	s_wait_alu 0xfffe
	s_mul_u64 s[34:35], s[30:31], s[28:29]
	s_wait_alu 0xfffe
	s_mul_hi_u32 s37, s28, s35
	s_mul_i32 s36, s28, s35
	s_mul_hi_u32 s2, s28, s34
	s_mul_i32 s33, s29, s34
	s_wait_alu 0xfffe
	s_add_nc_u64 s[36:37], s[2:3], s[36:37]
	s_mul_hi_u32 s27, s29, s34
	s_mul_hi_u32 s38, s29, s35
	s_add_co_u32 s2, s36, s33
	s_wait_alu 0xfffe
	s_add_co_ci_u32 s2, s37, s27
	s_mul_i32 s34, s29, s35
	s_add_co_ci_u32 s35, s38, 0
	s_wait_alu 0xfffe
	s_add_nc_u64 s[34:35], s[2:3], s[34:35]
	s_wait_alu 0xfffe
	v_add_co_u32 v4, s2, s28, s34
	s_delay_alu instid0(VALU_DEP_1) | instskip(SKIP_1) | instid1(VALU_DEP_1)
	s_cmp_lg_u32 s2, 0
	s_add_co_ci_u32 s29, s29, s35
	v_readfirstlane_b32 s28, v4
	s_wait_alu 0xfffe
	s_delay_alu instid0(VALU_DEP_1)
	s_mul_u64 s[30:31], s[30:31], s[28:29]
	s_wait_alu 0xfffe
	s_mul_hi_u32 s35, s28, s31
	s_mul_i32 s34, s28, s31
	s_mul_hi_u32 s2, s28, s30
	s_mul_i32 s33, s29, s30
	s_wait_alu 0xfffe
	s_add_nc_u64 s[34:35], s[2:3], s[34:35]
	s_mul_hi_u32 s27, s29, s30
	s_mul_hi_u32 s28, s29, s31
	s_wait_alu 0xfffe
	s_add_co_u32 s2, s34, s33
	s_add_co_ci_u32 s2, s35, s27
	s_mul_i32 s30, s29, s31
	s_add_co_ci_u32 s31, s28, 0
	s_wait_alu 0xfffe
	s_add_nc_u64 s[30:31], s[2:3], s[30:31]
	s_wait_alu 0xfffe
	v_add_co_u32 v4, s2, v4, s30
	s_delay_alu instid0(VALU_DEP_1) | instskip(SKIP_1) | instid1(VALU_DEP_1)
	s_cmp_lg_u32 s2, 0
	s_add_co_ci_u32 s2, s29, s31
	v_mul_hi_u32 v13, v5, v4
	s_wait_alu 0xfffe
	v_mad_co_u64_u32 v[7:8], null, v5, s2, 0
	v_mad_co_u64_u32 v[9:10], null, v6, v4, 0
	;; [unrolled: 1-line block ×3, first 2 shown]
	s_delay_alu instid0(VALU_DEP_3) | instskip(SKIP_1) | instid1(VALU_DEP_4)
	v_add_co_u32 v4, vcc_lo, v13, v7
	s_wait_alu 0xfffd
	v_add_co_ci_u32_e32 v7, vcc_lo, 0, v8, vcc_lo
	s_delay_alu instid0(VALU_DEP_2) | instskip(SKIP_1) | instid1(VALU_DEP_2)
	v_add_co_u32 v4, vcc_lo, v4, v9
	s_wait_alu 0xfffd
	v_add_co_ci_u32_e32 v4, vcc_lo, v7, v10, vcc_lo
	s_wait_alu 0xfffd
	v_add_co_ci_u32_e32 v7, vcc_lo, 0, v12, vcc_lo
	s_delay_alu instid0(VALU_DEP_2) | instskip(SKIP_1) | instid1(VALU_DEP_2)
	v_add_co_u32 v4, vcc_lo, v4, v11
	s_wait_alu 0xfffd
	v_add_co_ci_u32_e32 v9, vcc_lo, 0, v7, vcc_lo
	s_delay_alu instid0(VALU_DEP_2) | instskip(SKIP_1) | instid1(VALU_DEP_3)
	v_mul_lo_u32 v10, s25, v4
	v_mad_co_u64_u32 v[7:8], null, s24, v4, 0
	v_mul_lo_u32 v11, s24, v9
	s_delay_alu instid0(VALU_DEP_2) | instskip(NEXT) | instid1(VALU_DEP_2)
	v_sub_co_u32 v7, vcc_lo, v5, v7
	v_add3_u32 v8, v8, v11, v10
	s_delay_alu instid0(VALU_DEP_1) | instskip(SKIP_1) | instid1(VALU_DEP_1)
	v_sub_nc_u32_e32 v10, v6, v8
	s_wait_alu 0xfffd
	v_subrev_co_ci_u32_e64 v10, s2, s25, v10, vcc_lo
	v_add_co_u32 v11, s2, v4, 2
	s_wait_alu 0xf1ff
	v_add_co_ci_u32_e64 v12, s2, 0, v9, s2
	v_sub_co_u32 v13, s2, v7, s24
	v_sub_co_ci_u32_e32 v8, vcc_lo, v6, v8, vcc_lo
	s_wait_alu 0xf1ff
	v_subrev_co_ci_u32_e64 v10, s2, 0, v10, s2
	s_delay_alu instid0(VALU_DEP_3) | instskip(NEXT) | instid1(VALU_DEP_3)
	v_cmp_le_u32_e32 vcc_lo, s24, v13
	v_cmp_eq_u32_e64 s2, s25, v8
	s_wait_alu 0xfffd
	v_cndmask_b32_e64 v13, 0, -1, vcc_lo
	v_cmp_le_u32_e32 vcc_lo, s25, v10
	s_wait_alu 0xfffd
	v_cndmask_b32_e64 v14, 0, -1, vcc_lo
	v_cmp_le_u32_e32 vcc_lo, s24, v7
	;; [unrolled: 3-line block ×3, first 2 shown]
	s_wait_alu 0xfffd
	v_cndmask_b32_e64 v15, 0, -1, vcc_lo
	v_cmp_eq_u32_e32 vcc_lo, s25, v10
	s_wait_alu 0xf1ff
	s_delay_alu instid0(VALU_DEP_2)
	v_cndmask_b32_e64 v7, v15, v7, s2
	s_wait_alu 0xfffd
	v_cndmask_b32_e32 v10, v14, v13, vcc_lo
	v_add_co_u32 v13, vcc_lo, v4, 1
	s_wait_alu 0xfffd
	v_add_co_ci_u32_e32 v14, vcc_lo, 0, v9, vcc_lo
	s_delay_alu instid0(VALU_DEP_3) | instskip(SKIP_1) | instid1(VALU_DEP_2)
	v_cmp_ne_u32_e32 vcc_lo, 0, v10
	s_wait_alu 0xfffd
	v_cndmask_b32_e32 v8, v14, v12, vcc_lo
	v_cndmask_b32_e32 v10, v13, v11, vcc_lo
	v_cmp_ne_u32_e32 vcc_lo, 0, v7
	s_wait_alu 0xfffd
	s_delay_alu instid0(VALU_DEP_2)
	v_dual_cndmask_b32 v121, v9, v8 :: v_dual_cndmask_b32 v120, v4, v10
.LBB0_4:                                ;   in Loop: Header=BB0_2 Depth=1
	s_wait_alu 0xfffe
	s_and_not1_saveexec_b32 s2, s26
	s_cbranch_execz .LBB0_6
; %bb.5:                                ;   in Loop: Header=BB0_2 Depth=1
	v_cvt_f32_u32_e32 v4, s24
	s_sub_co_i32 s26, 0, s24
	v_mov_b32_e32 v121, v3
	s_delay_alu instid0(VALU_DEP_2) | instskip(NEXT) | instid1(TRANS32_DEP_1)
	v_rcp_iflag_f32_e32 v4, v4
	v_mul_f32_e32 v4, 0x4f7ffffe, v4
	s_delay_alu instid0(VALU_DEP_1) | instskip(SKIP_1) | instid1(VALU_DEP_1)
	v_cvt_u32_f32_e32 v4, v4
	s_wait_alu 0xfffe
	v_mul_lo_u32 v7, s26, v4
	s_delay_alu instid0(VALU_DEP_1) | instskip(NEXT) | instid1(VALU_DEP_1)
	v_mul_hi_u32 v7, v4, v7
	v_add_nc_u32_e32 v4, v4, v7
	s_delay_alu instid0(VALU_DEP_1) | instskip(NEXT) | instid1(VALU_DEP_1)
	v_mul_hi_u32 v4, v5, v4
	v_mul_lo_u32 v7, v4, s24
	v_add_nc_u32_e32 v8, 1, v4
	s_delay_alu instid0(VALU_DEP_2) | instskip(NEXT) | instid1(VALU_DEP_1)
	v_sub_nc_u32_e32 v7, v5, v7
	v_subrev_nc_u32_e32 v9, s24, v7
	v_cmp_le_u32_e32 vcc_lo, s24, v7
	s_wait_alu 0xfffd
	s_delay_alu instid0(VALU_DEP_2) | instskip(NEXT) | instid1(VALU_DEP_1)
	v_dual_cndmask_b32 v7, v7, v9 :: v_dual_cndmask_b32 v4, v4, v8
	v_cmp_le_u32_e32 vcc_lo, s24, v7
	s_delay_alu instid0(VALU_DEP_2) | instskip(SKIP_1) | instid1(VALU_DEP_1)
	v_add_nc_u32_e32 v8, 1, v4
	s_wait_alu 0xfffd
	v_cndmask_b32_e32 v120, v4, v8, vcc_lo
.LBB0_6:                                ;   in Loop: Header=BB0_2 Depth=1
	s_wait_alu 0xfffe
	s_or_b32 exec_lo, exec_lo, s2
	v_mul_lo_u32 v4, v121, s24
	s_delay_alu instid0(VALU_DEP_2)
	v_mul_lo_u32 v9, v120, s25
	s_load_b64 s[26:27], s[18:19], 0x0
	v_mad_co_u64_u32 v[7:8], null, v120, s24, 0
	s_load_b64 s[24:25], s[16:17], 0x0
	s_add_nc_u64 s[20:21], s[20:21], 1
	s_add_nc_u64 s[16:17], s[16:17], 8
	s_wait_alu 0xfffe
	v_cmp_ge_u64_e64 s2, s[20:21], s[10:11]
	s_add_nc_u64 s[18:19], s[18:19], 8
	s_add_nc_u64 s[22:23], s[22:23], 8
	v_add3_u32 v4, v8, v9, v4
	v_sub_co_u32 v5, vcc_lo, v5, v7
	s_wait_alu 0xfffd
	s_delay_alu instid0(VALU_DEP_2) | instskip(SKIP_2) | instid1(VALU_DEP_1)
	v_sub_co_ci_u32_e32 v4, vcc_lo, v6, v4, vcc_lo
	s_and_b32 vcc_lo, exec_lo, s2
	s_wait_kmcnt 0x0
	v_mul_lo_u32 v6, s26, v4
	v_mul_lo_u32 v7, s27, v5
	v_mad_co_u64_u32 v[1:2], null, s26, v5, v[1:2]
	v_mul_lo_u32 v4, s24, v4
	v_mul_lo_u32 v8, s25, v5
	v_mad_co_u64_u32 v[116:117], null, s24, v5, v[116:117]
	s_delay_alu instid0(VALU_DEP_4) | instskip(NEXT) | instid1(VALU_DEP_2)
	v_add3_u32 v2, v7, v2, v6
	v_add3_u32 v117, v8, v117, v4
	s_wait_alu 0xfffe
	s_cbranch_vccnz .LBB0_9
; %bb.7:                                ;   in Loop: Header=BB0_2 Depth=1
	v_dual_mov_b32 v5, v120 :: v_dual_mov_b32 v6, v121
	s_branch .LBB0_2
.LBB0_8:
	v_dual_mov_b32 v117, v2 :: v_dual_mov_b32 v116, v1
	v_dual_mov_b32 v121, v6 :: v_dual_mov_b32 v120, v5
.LBB0_9:
	s_load_b64 s[0:1], s[0:1], 0x28
	v_mul_hi_u32 v3, 0x4ec4ec5, v0
	s_lshl_b64 s[10:11], s[10:11], 3
                                        ; implicit-def: $vgpr118
	s_wait_alu 0xfffe
	s_add_nc_u64 s[2:3], s[14:15], s[10:11]
	s_wait_kmcnt 0x0
	v_cmp_gt_u64_e32 vcc_lo, s[0:1], v[120:121]
	v_cmp_le_u64_e64 s0, s[0:1], v[120:121]
	s_delay_alu instid0(VALU_DEP_1)
	s_and_saveexec_b32 s1, s0
	s_wait_alu 0xfffe
	s_xor_b32 s0, exec_lo, s1
; %bb.10:
	v_mul_u32_u24_e32 v1, 52, v3
                                        ; implicit-def: $vgpr3
	s_delay_alu instid0(VALU_DEP_1)
	v_sub_nc_u32_e32 v118, v0, v1
                                        ; implicit-def: $vgpr0
                                        ; implicit-def: $vgpr1_vgpr2
; %bb.11:
	s_wait_alu 0xfffe
	s_or_saveexec_b32 s1, s0
	s_load_b64 s[2:3], s[2:3], 0x0
	s_xor_b32 exec_lo, exec_lo, s1
	s_cbranch_execz .LBB0_15
; %bb.12:
	s_add_nc_u64 s[10:11], s[12:13], s[10:11]
	v_lshlrev_b64_e32 v[1:2], 4, v[1:2]
	s_load_b64 s[10:11], s[10:11], 0x0
	s_wait_kmcnt 0x0
	v_mul_lo_u32 v6, s11, v120
	v_mul_lo_u32 v7, s10, v121
	v_mad_co_u64_u32 v[4:5], null, s10, v120, 0
	s_delay_alu instid0(VALU_DEP_1) | instskip(SKIP_1) | instid1(VALU_DEP_2)
	v_add3_u32 v5, v5, v7, v6
	v_mul_u32_u24_e32 v6, 52, v3
	v_lshlrev_b64_e32 v[3:4], 4, v[4:5]
	s_delay_alu instid0(VALU_DEP_2) | instskip(NEXT) | instid1(VALU_DEP_1)
	v_sub_nc_u32_e32 v118, v0, v6
	v_lshlrev_b32_e32 v86, 4, v118
	s_delay_alu instid0(VALU_DEP_3) | instskip(SKIP_1) | instid1(VALU_DEP_4)
	v_add_co_u32 v0, s0, s4, v3
	s_wait_alu 0xf1ff
	v_add_co_ci_u32_e64 v3, s0, s5, v4, s0
	s_delay_alu instid0(VALU_DEP_2) | instskip(SKIP_1) | instid1(VALU_DEP_2)
	v_add_co_u32 v0, s0, v0, v1
	s_wait_alu 0xf1ff
	v_add_co_ci_u32_e64 v1, s0, v3, v2, s0
	s_delay_alu instid0(VALU_DEP_2) | instskip(SKIP_1) | instid1(VALU_DEP_2)
	v_add_co_u32 v82, s0, v0, v86
	s_wait_alu 0xf1ff
	v_add_co_ci_u32_e64 v83, s0, 0, v1, s0
	s_clause 0x14
	global_load_b128 v[2:5], v[82:83], off
	global_load_b128 v[6:9], v[82:83], off offset:832
	global_load_b128 v[10:13], v[82:83], off offset:1664
	global_load_b128 v[14:17], v[82:83], off offset:2496
	global_load_b128 v[18:21], v[82:83], off offset:3328
	global_load_b128 v[22:25], v[82:83], off offset:4160
	global_load_b128 v[26:29], v[82:83], off offset:4992
	global_load_b128 v[30:33], v[82:83], off offset:5824
	global_load_b128 v[34:37], v[82:83], off offset:6656
	global_load_b128 v[38:41], v[82:83], off offset:7488
	global_load_b128 v[42:45], v[82:83], off offset:8320
	global_load_b128 v[46:49], v[82:83], off offset:9152
	global_load_b128 v[50:53], v[82:83], off offset:9984
	global_load_b128 v[54:57], v[82:83], off offset:10816
	global_load_b128 v[58:61], v[82:83], off offset:11648
	global_load_b128 v[62:65], v[82:83], off offset:12480
	global_load_b128 v[66:69], v[82:83], off offset:13312
	global_load_b128 v[70:73], v[82:83], off offset:14144
	global_load_b128 v[74:77], v[82:83], off offset:14976
	global_load_b128 v[78:81], v[82:83], off offset:15808
	global_load_b128 v[82:85], v[82:83], off offset:16640
	v_add_nc_u32_e32 v86, 0, v86
	v_cmp_eq_u32_e64 s0, 51, v118
	s_wait_loadcnt 0x14
	ds_store_b128 v86, v[2:5]
	s_wait_loadcnt 0x13
	ds_store_b128 v86, v[6:9] offset:832
	s_wait_loadcnt 0x12
	ds_store_b128 v86, v[10:13] offset:1664
	;; [unrolled: 2-line block ×20, first 2 shown]
	s_and_saveexec_b32 s4, s0
	s_cbranch_execz .LBB0_14
; %bb.13:
	global_load_b128 v[0:3], v[0:1], off offset:17472
	v_mov_b32_e32 v4, 0
	v_mov_b32_e32 v118, 51
	s_wait_loadcnt 0x0
	ds_store_b128 v4, v[0:3] offset:17472
.LBB0_14:
	s_wait_alu 0xfffe
	s_or_b32 exec_lo, exec_lo, s4
.LBB0_15:
	s_delay_alu instid0(SALU_CYCLE_1)
	s_or_b32 exec_lo, exec_lo, s1
	v_lshlrev_b32_e32 v0, 4, v118
	global_wb scope:SCOPE_SE
	s_wait_dscnt 0x0
	s_wait_kmcnt 0x0
	s_barrier_signal -1
	s_barrier_wait -1
	global_inv scope:SCOPE_SE
	v_add_nc_u32_e32 v215, 0, v0
	v_sub_nc_u32_e32 v10, 0, v0
	s_mov_b32 s1, exec_lo
                                        ; implicit-def: $vgpr4_vgpr5
	ds_load_b64 v[6:7], v215
	ds_load_b64 v[8:9], v10 offset:17472
	s_wait_dscnt 0x0
	v_add_f64_e32 v[0:1], v[6:7], v[8:9]
	v_add_f64_e64 v[2:3], v[6:7], -v[8:9]
	v_cmpx_ne_u32_e32 0, v118
	s_wait_alu 0xfffe
	s_xor_b32 s1, exec_lo, s1
	s_cbranch_execz .LBB0_17
; %bb.16:
	v_mov_b32_e32 v119, 0
	v_add_f64_e32 v[13:14], v[6:7], v[8:9]
	v_add_f64_e64 v[15:16], v[6:7], -v[8:9]
	s_delay_alu instid0(VALU_DEP_3) | instskip(NEXT) | instid1(VALU_DEP_1)
	v_lshlrev_b64_e32 v[0:1], 4, v[118:119]
	v_add_co_u32 v0, s0, s8, v0
	s_wait_alu 0xf1ff
	s_delay_alu instid0(VALU_DEP_2)
	v_add_co_ci_u32_e64 v1, s0, s9, v1, s0
	global_load_b128 v[2:5], v[0:1], off offset:17440
	ds_load_b64 v[0:1], v10 offset:17480
	ds_load_b64 v[11:12], v215 offset:8
	s_wait_dscnt 0x0
	v_add_f64_e32 v[6:7], v[0:1], v[11:12]
	v_add_f64_e64 v[0:1], v[11:12], -v[0:1]
	s_wait_loadcnt 0x0
	v_fma_f64 v[8:9], v[15:16], v[4:5], v[13:14]
	v_fma_f64 v[11:12], -v[15:16], v[4:5], v[13:14]
	s_delay_alu instid0(VALU_DEP_3) | instskip(SKIP_1) | instid1(VALU_DEP_4)
	v_fma_f64 v[13:14], v[6:7], v[4:5], -v[0:1]
	v_fma_f64 v[4:5], v[6:7], v[4:5], v[0:1]
	v_fma_f64 v[0:1], -v[6:7], v[2:3], v[8:9]
	s_delay_alu instid0(VALU_DEP_4) | instskip(NEXT) | instid1(VALU_DEP_4)
	v_fma_f64 v[6:7], v[6:7], v[2:3], v[11:12]
	v_fma_f64 v[8:9], v[15:16], v[2:3], v[13:14]
	s_delay_alu instid0(VALU_DEP_4)
	v_fma_f64 v[2:3], v[15:16], v[2:3], v[4:5]
	v_dual_mov_b32 v4, v118 :: v_dual_mov_b32 v5, v119
	ds_store_b128 v10, v[6:9] offset:17472
.LBB0_17:
	s_wait_alu 0xfffe
	s_and_not1_saveexec_b32 s0, s1
	s_cbranch_execz .LBB0_19
; %bb.18:
	v_mov_b32_e32 v8, 0
	ds_load_b128 v[4:7], v8 offset:8736
	s_wait_dscnt 0x0
	v_add_f64_e32 v[11:12], v[4:5], v[4:5]
	v_mul_f64_e32 v[13:14], -2.0, v[6:7]
	v_mov_b32_e32 v4, 0
	v_mov_b32_e32 v5, 0
	ds_store_b128 v8, v[11:14] offset:8736
.LBB0_19:
	s_wait_alu 0xfffe
	s_or_b32 exec_lo, exec_lo, s0
	v_lshlrev_b64_e32 v[4:5], 4, v[4:5]
	s_add_nc_u64 s[0:1], s[8:9], 0x4420
	s_wait_alu 0xfffe
	s_delay_alu instid0(VALU_DEP_1) | instskip(SKIP_1) | instid1(VALU_DEP_2)
	v_add_co_u32 v4, s0, s0, v4
	s_wait_alu 0xf1ff
	v_add_co_ci_u32_e64 v5, s0, s1, v5, s0
	v_cmp_gt_u32_e64 s0, 26, v118
	s_clause 0x1
	global_load_b128 v[6:9], v[4:5], off offset:832
	global_load_b128 v[11:14], v[4:5], off offset:1664
	ds_store_b128 v215, v[0:3]
	ds_load_b128 v[0:3], v215 offset:832
	ds_load_b128 v[15:18], v10 offset:16640
	global_load_b128 v[19:22], v[4:5], off offset:2496
	s_wait_dscnt 0x0
	v_add_f64_e32 v[23:24], v[0:1], v[15:16]
	v_add_f64_e32 v[25:26], v[17:18], v[2:3]
	v_add_f64_e64 v[27:28], v[0:1], -v[15:16]
	v_add_f64_e64 v[0:1], v[2:3], -v[17:18]
	s_wait_loadcnt 0x2
	s_delay_alu instid0(VALU_DEP_2) | instskip(NEXT) | instid1(VALU_DEP_2)
	v_fma_f64 v[2:3], v[27:28], v[8:9], v[23:24]
	v_fma_f64 v[15:16], v[25:26], v[8:9], v[0:1]
	v_fma_f64 v[17:18], -v[27:28], v[8:9], v[23:24]
	v_fma_f64 v[8:9], v[25:26], v[8:9], -v[0:1]
	s_delay_alu instid0(VALU_DEP_4) | instskip(NEXT) | instid1(VALU_DEP_4)
	v_fma_f64 v[0:1], -v[25:26], v[6:7], v[2:3]
	v_fma_f64 v[2:3], v[27:28], v[6:7], v[15:16]
	s_delay_alu instid0(VALU_DEP_4) | instskip(NEXT) | instid1(VALU_DEP_4)
	v_fma_f64 v[15:16], v[25:26], v[6:7], v[17:18]
	v_fma_f64 v[17:18], v[27:28], v[6:7], v[8:9]
	ds_store_b128 v215, v[0:3] offset:832
	ds_store_b128 v10, v[15:18] offset:16640
	ds_load_b128 v[0:3], v215 offset:1664
	ds_load_b128 v[6:9], v10 offset:15808
	global_load_b128 v[15:18], v[4:5], off offset:3328
	s_wait_dscnt 0x0
	v_add_f64_e32 v[23:24], v[0:1], v[6:7]
	v_add_f64_e32 v[25:26], v[8:9], v[2:3]
	v_add_f64_e64 v[27:28], v[0:1], -v[6:7]
	v_add_f64_e64 v[0:1], v[2:3], -v[8:9]
	s_wait_loadcnt 0x2
	s_delay_alu instid0(VALU_DEP_2) | instskip(NEXT) | instid1(VALU_DEP_2)
	v_fma_f64 v[2:3], v[27:28], v[13:14], v[23:24]
	v_fma_f64 v[6:7], v[25:26], v[13:14], v[0:1]
	v_fma_f64 v[8:9], -v[27:28], v[13:14], v[23:24]
	v_fma_f64 v[13:14], v[25:26], v[13:14], -v[0:1]
	s_delay_alu instid0(VALU_DEP_4) | instskip(NEXT) | instid1(VALU_DEP_4)
	v_fma_f64 v[0:1], -v[25:26], v[11:12], v[2:3]
	v_fma_f64 v[2:3], v[27:28], v[11:12], v[6:7]
	s_delay_alu instid0(VALU_DEP_4) | instskip(NEXT) | instid1(VALU_DEP_4)
	v_fma_f64 v[6:7], v[25:26], v[11:12], v[8:9]
	v_fma_f64 v[8:9], v[27:28], v[11:12], v[13:14]
	ds_store_b128 v215, v[0:3] offset:1664
	ds_store_b128 v10, v[6:9] offset:15808
	;; [unrolled: 22-line block ×7, first 2 shown]
	ds_load_b128 v[0:3], v215 offset:6656
	ds_load_b128 v[6:9], v10 offset:10816
	s_wait_dscnt 0x0
	v_add_f64_e32 v[15:16], v[0:1], v[6:7]
	v_add_f64_e32 v[17:18], v[8:9], v[2:3]
	v_add_f64_e64 v[23:24], v[0:1], -v[6:7]
	v_add_f64_e64 v[0:1], v[2:3], -v[8:9]
	s_wait_loadcnt 0x1
	s_delay_alu instid0(VALU_DEP_2) | instskip(NEXT) | instid1(VALU_DEP_2)
	v_fma_f64 v[2:3], v[23:24], v[13:14], v[15:16]
	v_fma_f64 v[6:7], v[17:18], v[13:14], v[0:1]
	v_fma_f64 v[8:9], -v[23:24], v[13:14], v[15:16]
	v_fma_f64 v[13:14], v[17:18], v[13:14], -v[0:1]
	s_delay_alu instid0(VALU_DEP_4) | instskip(NEXT) | instid1(VALU_DEP_4)
	v_fma_f64 v[0:1], -v[17:18], v[11:12], v[2:3]
	v_fma_f64 v[2:3], v[23:24], v[11:12], v[6:7]
	s_delay_alu instid0(VALU_DEP_4) | instskip(NEXT) | instid1(VALU_DEP_4)
	v_fma_f64 v[6:7], v[17:18], v[11:12], v[8:9]
	v_fma_f64 v[8:9], v[23:24], v[11:12], v[13:14]
	ds_store_b128 v215, v[0:3] offset:6656
	ds_store_b128 v10, v[6:9] offset:10816
	ds_load_b128 v[0:3], v215 offset:7488
	ds_load_b128 v[6:9], v10 offset:9984
	s_wait_dscnt 0x0
	v_add_f64_e32 v[11:12], v[0:1], v[6:7]
	v_add_f64_e32 v[13:14], v[8:9], v[2:3]
	v_add_f64_e64 v[15:16], v[0:1], -v[6:7]
	v_add_f64_e64 v[0:1], v[2:3], -v[8:9]
	s_wait_loadcnt 0x0
	s_delay_alu instid0(VALU_DEP_2) | instskip(NEXT) | instid1(VALU_DEP_2)
	v_fma_f64 v[2:3], v[15:16], v[21:22], v[11:12]
	v_fma_f64 v[6:7], v[13:14], v[21:22], v[0:1]
	v_fma_f64 v[8:9], -v[15:16], v[21:22], v[11:12]
	v_fma_f64 v[11:12], v[13:14], v[21:22], -v[0:1]
	s_delay_alu instid0(VALU_DEP_4) | instskip(NEXT) | instid1(VALU_DEP_4)
	v_fma_f64 v[0:1], -v[13:14], v[19:20], v[2:3]
	v_fma_f64 v[2:3], v[15:16], v[19:20], v[6:7]
	s_delay_alu instid0(VALU_DEP_4) | instskip(NEXT) | instid1(VALU_DEP_4)
	v_fma_f64 v[6:7], v[13:14], v[19:20], v[8:9]
	v_fma_f64 v[8:9], v[15:16], v[19:20], v[11:12]
	ds_store_b128 v215, v[0:3] offset:7488
	ds_store_b128 v10, v[6:9] offset:9984
	s_and_saveexec_b32 s1, s0
	s_cbranch_execz .LBB0_21
; %bb.20:
	global_load_b128 v[0:3], v[4:5], off offset:8320
	ds_load_b128 v[4:7], v215 offset:8320
	ds_load_b128 v[11:14], v10 offset:9152
	s_wait_dscnt 0x0
	v_add_f64_e32 v[8:9], v[4:5], v[11:12]
	v_add_f64_e32 v[15:16], v[13:14], v[6:7]
	v_add_f64_e64 v[11:12], v[4:5], -v[11:12]
	v_add_f64_e64 v[4:5], v[6:7], -v[13:14]
	s_wait_loadcnt 0x0
	s_delay_alu instid0(VALU_DEP_2) | instskip(NEXT) | instid1(VALU_DEP_2)
	v_fma_f64 v[6:7], v[11:12], v[2:3], v[8:9]
	v_fma_f64 v[13:14], v[15:16], v[2:3], v[4:5]
	v_fma_f64 v[8:9], -v[11:12], v[2:3], v[8:9]
	v_fma_f64 v[17:18], v[15:16], v[2:3], -v[4:5]
	s_delay_alu instid0(VALU_DEP_4) | instskip(NEXT) | instid1(VALU_DEP_4)
	v_fma_f64 v[2:3], -v[15:16], v[0:1], v[6:7]
	v_fma_f64 v[4:5], v[11:12], v[0:1], v[13:14]
	s_delay_alu instid0(VALU_DEP_4) | instskip(NEXT) | instid1(VALU_DEP_4)
	v_fma_f64 v[6:7], v[15:16], v[0:1], v[8:9]
	v_fma_f64 v[8:9], v[11:12], v[0:1], v[17:18]
	ds_store_b128 v215, v[2:5] offset:8320
	ds_store_b128 v10, v[6:9] offset:9152
.LBB0_21:
	s_wait_alu 0xfffe
	s_or_b32 exec_lo, exec_lo, s1
	global_wb scope:SCOPE_SE
	s_wait_dscnt 0x0
	s_barrier_signal -1
	s_barrier_wait -1
	global_inv scope:SCOPE_SE
	global_wb scope:SCOPE_SE
	s_barrier_signal -1
	s_barrier_wait -1
	global_inv scope:SCOPE_SE
	ds_load_b128 v[0:3], v215 offset:8736
	ds_load_b128 v[4:7], v215
	ds_load_b128 v[8:11], v215 offset:832
	ds_load_b128 v[12:15], v215 offset:9568
	;; [unrolled: 1-line block ×19, first 2 shown]
	s_wait_dscnt 0x13
	v_add_f64_e64 v[80:81], v[4:5], -v[0:1]
	v_add_f64_e64 v[82:83], v[6:7], -v[2:3]
	ds_load_b128 v[0:3], v215 offset:16224
	s_wait_dscnt 0x12
	v_add_f64_e64 v[12:13], v[8:9], -v[12:13]
	v_add_f64_e64 v[14:15], v[10:11], -v[14:15]
	s_wait_dscnt 0x10
	v_add_f64_e64 v[16:17], v[20:21], -v[16:17]
	v_add_f64_e64 v[18:19], v[22:23], -v[18:19]
	;; [unrolled: 3-line block ×3, first 2 shown]
	s_wait_dscnt 0xc
	v_add_f64_e64 v[96:97], v[36:37], -v[32:33]
	s_wait_dscnt 0xa
	v_add_f64_e64 v[44:45], v[40:41], -v[44:45]
	v_add_f64_e64 v[46:47], v[42:43], -v[46:47]
	;; [unrolled: 1-line block ×3, first 2 shown]
	s_wait_dscnt 0x8
	v_add_f64_e64 v[48:49], v[52:53], -v[48:49]
	v_add_f64_e64 v[50:51], v[54:55], -v[50:51]
	s_wait_dscnt 0x6
	v_add_f64_e64 v[60:61], v[56:57], -v[60:61]
	v_add_f64_e64 v[62:63], v[58:59], -v[62:63]
	;; [unrolled: 3-line block ×3, first 2 shown]
	v_add_nc_u32_e32 v104, 52, v118
	v_add_nc_u32_e32 v89, 0x9c, v118
	v_add_nc_u32_e32 v91, 0x104, v118
	s_wait_dscnt 0x0
	v_add_f64_e64 v[100:101], v[72:73], -v[0:1]
	v_add_f64_e64 v[102:103], v[74:75], -v[2:3]
	;; [unrolled: 1-line block ×4, first 2 shown]
	v_add_nc_u32_e32 v85, 0x68, v118
	v_lshl_add_u32 v84, v118, 5, 0
	v_add_nc_u32_e32 v90, 0xd0, v118
	v_add_nc_u32_e32 v92, 0x138, v118
	global_wb scope:SCOPE_SE
	s_barrier_signal -1
	s_barrier_wait -1
	global_inv scope:SCOPE_SE
	v_add_nc_u32_e32 v93, 0x16c, v118
	v_add_nc_u32_e32 v94, 0x1a0, v118
	;; [unrolled: 1-line block ×4, first 2 shown]
	v_fma_f64 v[4:5], v[4:5], 2.0, -v[80:81]
	v_fma_f64 v[6:7], v[6:7], 2.0, -v[82:83]
	;; [unrolled: 1-line block ×22, first 2 shown]
	v_lshl_add_u32 v76, v104, 5, 0
	v_lshl_add_u32 v77, v85, 5, 0
	;; [unrolled: 1-line block ×4, first 2 shown]
	ds_store_b128 v84, v[4:7]
	ds_store_b128 v84, v[80:83] offset:16
	ds_store_b128 v76, v[8:11]
	ds_store_b128 v76, v[12:15] offset:16
	;; [unrolled: 2-line block ×3, first 2 shown]
	v_lshl_add_u32 v4, v91, 5, 0
	v_lshl_add_u32 v5, v92, 5, 0
	ds_store_b128 v78, v[24:27]
	ds_store_b128 v78, v[28:31] offset:16
	ds_store_b128 v79, v[36:39]
	ds_store_b128 v79, v[96:99] offset:16
	;; [unrolled: 2-line block ×3, first 2 shown]
	v_lshl_add_u32 v4, v93, 5, 0
	v_lshl_add_u32 v6, v94, 5, 0
	ds_store_b128 v5, v[52:55]
	ds_store_b128 v5, v[48:51] offset:16
	v_lshl_add_u32 v5, v95, 5, 0
	ds_store_b128 v4, v[56:59]
	ds_store_b128 v4, v[60:63] offset:16
	ds_store_b128 v6, v[68:71]
	ds_store_b128 v6, v[64:67] offset:16
	;; [unrolled: 2-line block ×3, first 2 shown]
	s_and_saveexec_b32 s1, s0
	s_cbranch_execz .LBB0_23
; %bb.22:
	v_lshl_add_u32 v4, v88, 5, 0
	ds_store_b128 v4, v[32:35]
	ds_store_b128 v4, v[0:3] offset:16
.LBB0_23:
	s_wait_alu 0xfffe
	s_or_b32 exec_lo, exec_lo, s1
	global_wb scope:SCOPE_SE
	s_wait_dscnt 0x0
	s_barrier_signal -1
	s_barrier_wait -1
	global_inv scope:SCOPE_SE
	ds_load_b128 v[20:23], v215
	ds_load_b128 v[24:27], v215 offset:832
	ds_load_b128 v[8:11], v215 offset:8736
	;; [unrolled: 1-line block ×19, first 2 shown]
	v_add_nc_u32_e32 v96, 0x68, v118
	v_lshlrev_b32_e32 v122, 1, v118
	v_lshlrev_b32_e32 v126, 1, v104
	;; [unrolled: 1-line block ×10, first 2 shown]
	s_and_saveexec_b32 s1, s0
	s_cbranch_execz .LBB0_25
; %bb.24:
	ds_load_b128 v[32:35], v215 offset:8320
	ds_load_b128 v[0:3], v215 offset:17056
.LBB0_25:
	s_wait_alu 0xfffe
	s_or_b32 exec_lo, exec_lo, s1
	v_and_b32_e32 v92, 1, v118
	s_delay_alu instid0(VALU_DEP_1)
	v_lshlrev_b32_e32 v93, 4, v92
	global_load_b128 v[93:96], v93, s[8:9]
	s_wait_loadcnt_dscnt 0x11
	v_mul_f64_e32 v[97:98], v[10:11], v[95:96]
	v_mul_f64_e32 v[99:100], v[8:9], v[95:96]
	s_wait_dscnt 0x10
	v_mul_f64_e32 v[101:102], v[6:7], v[95:96]
	v_mul_f64_e32 v[103:104], v[4:5], v[95:96]
	s_wait_dscnt 0xd
	;; [unrolled: 3-line block ×9, first 2 shown]
	v_mul_f64_e32 v[153:154], v[82:83], v[95:96]
	v_mul_f64_e32 v[155:156], v[80:81], v[95:96]
	;; [unrolled: 1-line block ×4, first 2 shown]
	v_fma_f64 v[8:9], v[8:9], v[93:94], -v[97:98]
	v_fma_f64 v[10:11], v[10:11], v[93:94], v[99:100]
	v_fma_f64 v[4:5], v[4:5], v[93:94], -v[101:102]
	v_fma_f64 v[6:7], v[6:7], v[93:94], v[103:104]
	;; [unrolled: 2-line block ×11, first 2 shown]
	v_add_f64_e64 v[64:65], v[20:21], -v[8:9]
	v_add_f64_e64 v[66:67], v[22:23], -v[10:11]
	;; [unrolled: 1-line block ×22, first 2 shown]
	v_mov_b32_e32 v93, v126
	v_and_or_b32 v105, 0x7c, v122, v92
	v_and_or_b32 v106, 0xfc, v126, v92
	v_and_or_b32 v107, 0x1fc, v125, v92
	v_and_or_b32 v108, 0x1fc, v124, v92
	scratch_store_b64 off, v[93:94], off offset:40 ; 8-byte Folded Spill
	v_mov_b32_e32 v93, v125
	v_and_or_b32 v109, 0x3fc, v123, v92
	v_and_or_b32 v110, 0x2fc, v119, v92
	;; [unrolled: 1-line block ×3, first 2 shown]
	scratch_store_b64 off, v[93:94], off offset:32 ; 8-byte Folded Spill
	v_mov_b32_e32 v93, v124
	scratch_store_b64 off, v[93:94], off offset:24 ; 8-byte Folded Spill
	v_mov_b32_e32 v93, v123
	v_fma_f64 v[95:96], v[22:23], 2.0, -v[66:67]
	v_fma_f64 v[97:98], v[24:25], 2.0, -v[68:69]
	v_fma_f64 v[99:100], v[26:27], 2.0, -v[70:71]
	v_fma_f64 v[101:102], v[28:29], 2.0, -v[72:73]
	scratch_store_b64 off, v[93:94], off offset:16 ; 8-byte Folded Spill
	v_mov_b32_e32 v93, v119
	v_fma_f64 v[103:104], v[30:31], 2.0, -v[74:75]
	v_fma_f64 v[36:37], v[36:37], 2.0, -v[76:77]
	v_fma_f64 v[38:39], v[38:39], 2.0, -v[78:79]
	v_fma_f64 v[40:41], v[40:41], 2.0, -v[80:81]
	;; [unrolled: 6-line block ×3, first 2 shown]
	scratch_store_b64 off, v[93:94], off    ; 8-byte Folded Spill
	v_fma_f64 v[93:94], v[20:21], 2.0, -v[64:65]
	v_fma_f64 v[20:21], v[56:57], 2.0, -v[8:9]
	;; [unrolled: 1-line block ×10, first 2 shown]
	v_and_or_b32 v32, 0x3fc, v91, v92
	v_and_or_b32 v33, 0x3fc, v90, v92
	;; [unrolled: 1-line block ×3, first 2 shown]
	v_lshl_add_u32 v35, v105, 4, 0
	v_lshl_add_u32 v52, v106, 4, 0
	;; [unrolled: 1-line block ×3, first 2 shown]
	global_wb scope:SCOPE_SE
	s_wait_storecnt 0x0
	s_barrier_signal -1
	s_barrier_wait -1
	global_inv scope:SCOPE_SE
	v_lshl_add_u32 v54, v108, 4, 0
	v_lshl_add_u32 v55, v109, 4, 0
	;; [unrolled: 1-line block ×7, first 2 shown]
	ds_store_b128 v35, v[93:96]
	ds_store_b128 v35, v[64:67] offset:32
	ds_store_b128 v52, v[97:100]
	ds_store_b128 v52, v[68:71] offset:32
	;; [unrolled: 2-line block ×10, first 2 shown]
	s_and_saveexec_b32 s1, s0
	s_cbranch_execz .LBB0_27
; %bb.26:
	v_lshlrev_b32_e32 v32, 1, v88
	s_delay_alu instid0(VALU_DEP_1) | instskip(NEXT) | instid1(VALU_DEP_1)
	v_and_or_b32 v32, 0x47c, v32, v92
	v_lshl_add_u32 v32, v32, 4, 0
	ds_store_b128 v32, v[157:160]
	ds_store_b128 v32, v[16:19] offset:32
.LBB0_27:
	s_wait_alu 0xfffe
	s_or_b32 exec_lo, exec_lo, s1
	global_wb scope:SCOPE_SE
	s_wait_dscnt 0x0
	s_barrier_signal -1
	s_barrier_wait -1
	global_inv scope:SCOPE_SE
	ds_load_b128 v[100:103], v215
	ds_load_b128 v[64:67], v215 offset:1344
	ds_load_b128 v[60:63], v215 offset:2688
	ds_load_b128 v[72:75], v215 offset:4032
	ds_load_b128 v[68:71], v215 offset:5376
	ds_load_b128 v[80:83], v215 offset:6720
	ds_load_b128 v[76:79], v215 offset:8064
	ds_load_b128 v[92:95], v215 offset:9408
	ds_load_b128 v[88:91], v215 offset:10752
	ds_load_b128 v[84:87], v215 offset:12096
	ds_load_b128 v[108:111], v215 offset:13440
	ds_load_b128 v[104:107], v215 offset:14784
	ds_load_b128 v[112:115], v215 offset:16128
	v_cmp_gt_u32_e64 s0, 32, v118
                                        ; implicit-def: $vgpr32_vgpr33
	s_clause 0x3
	scratch_store_b128 off, v[30:33], off offset:96
	; meta instruction
	scratch_store_b128 off, v[30:33], off offset:80
	; meta instruction
	scratch_store_b128 off, v[30:33], off offset:64
	; meta instruction
	scratch_store_b128 off, v[30:33], off offset:48
	s_and_saveexec_b32 s1, s0
	s_cbranch_execz .LBB0_29
; %bb.28:
	ds_load_b128 v[0:3], v215 offset:832
	ds_load_b128 v[24:27], v215 offset:2176
	;; [unrolled: 1-line block ×10, first 2 shown]
	s_wait_dscnt 0x0
	scratch_store_b128 off, v[32:35], off offset:48 ; 16-byte Folded Spill
	ds_load_b128 v[32:35], v215 offset:14272
	s_wait_dscnt 0x0
	scratch_store_b128 off, v[32:35], off offset:64 ; 16-byte Folded Spill
	ds_load_b128 v[32:35], v215 offset:15616
	;; [unrolled: 3-line block ×3, first 2 shown]
	s_wait_dscnt 0x0
	scratch_store_b128 off, v[32:35], off offset:96 ; 16-byte Folded Spill
.LBB0_29:
	s_wait_alu 0xfffe
	s_or_b32 exec_lo, exec_lo, s1
	v_and_b32_e32 v119, 3, v118
	s_mov_b32 s28, 0x4267c47c
	s_mov_b32 s26, 0x42a4c3d2
	;; [unrolled: 1-line block ×4, first 2 shown]
	v_mul_u32_u24_e32 v32, 12, v119
	s_mov_b32 s20, 0x24c2f84
	s_mov_b32 s18, 0x4bc48dbf
	;; [unrolled: 1-line block ×4, first 2 shown]
	v_lshlrev_b32_e32 v32, 4, v32
	s_mov_b32 s25, 0xbfefc445
	s_mov_b32 s23, 0xbfedeba7
	;; [unrolled: 1-line block ×4, first 2 shown]
	s_clause 0x1
	global_load_b128 v[52:55], v32, s[8:9] offset:32
	global_load_b128 v[56:59], v32, s[8:9] offset:48
	s_mov_b32 s30, 0xe00740e9
	s_mov_b32 s14, 0x1ea71119
	;; [unrolled: 1-line block ×13, first 2 shown]
	s_wait_alu 0xfffe
	s_mov_b32 s34, s20
	s_mov_b32 s37, 0x3fefc445
	;; [unrolled: 1-line block ×11, first 2 shown]
	s_wait_loadcnt_dscnt 0x10b
	v_mul_f64_e32 v[96:97], v[66:67], v[54:55]
	s_delay_alu instid0(VALU_DEP_1) | instskip(SKIP_1) | instid1(VALU_DEP_1)
	v_fma_f64 v[169:170], v[64:65], v[52:53], -v[96:97]
	v_mul_f64_e32 v[64:65], v[64:65], v[54:55]
	v_fma_f64 v[173:174], v[66:67], v[52:53], v[64:65]
	s_wait_loadcnt_dscnt 0xa
	v_mul_f64_e32 v[64:65], v[62:63], v[58:59]
	s_delay_alu instid0(VALU_DEP_1) | instskip(SKIP_1) | instid1(VALU_DEP_1)
	v_fma_f64 v[36:37], v[60:61], v[56:57], -v[64:65]
	v_mul_f64_e32 v[60:61], v[60:61], v[58:59]
	v_fma_f64 v[38:39], v[62:63], v[56:57], v[60:61]
	s_clause 0x1
	global_load_b128 v[60:63], v32, s[8:9] offset:64
	global_load_b128 v[64:67], v32, s[8:9] offset:80
	s_wait_loadcnt_dscnt 0x109
	v_mul_f64_e32 v[96:97], v[74:75], v[62:63]
	s_delay_alu instid0(VALU_DEP_1) | instskip(SKIP_1) | instid1(VALU_DEP_1)
	v_fma_f64 v[40:41], v[72:73], v[60:61], -v[96:97]
	v_mul_f64_e32 v[72:73], v[72:73], v[62:63]
	v_fma_f64 v[42:43], v[74:75], v[60:61], v[72:73]
	s_wait_loadcnt_dscnt 0x8
	v_mul_f64_e32 v[72:73], v[70:71], v[66:67]
	s_delay_alu instid0(VALU_DEP_1) | instskip(SKIP_1) | instid1(VALU_DEP_1)
	v_fma_f64 v[44:45], v[68:69], v[64:65], -v[72:73]
	v_mul_f64_e32 v[68:69], v[68:69], v[66:67]
	v_fma_f64 v[46:47], v[70:71], v[64:65], v[68:69]
	s_clause 0x1
	global_load_b128 v[68:71], v32, s[8:9] offset:96
	global_load_b128 v[72:75], v32, s[8:9] offset:112
	;; [unrolled: 15-line block ×3, first 2 shown]
	s_wait_loadcnt_dscnt 0x105
	v_mul_f64_e32 v[96:97], v[94:95], v[82:83]
	s_delay_alu instid0(VALU_DEP_1) | instskip(SKIP_1) | instid1(VALU_DEP_1)
	v_fma_f64 v[161:162], v[92:93], v[80:81], -v[96:97]
	v_mul_f64_e32 v[92:93], v[92:93], v[82:83]
	v_fma_f64 v[163:164], v[94:95], v[80:81], v[92:93]
	s_wait_loadcnt_dscnt 0x4
	v_mul_f64_e32 v[92:93], v[90:91], v[78:79]
	s_delay_alu instid0(VALU_DEP_1) | instskip(SKIP_1) | instid1(VALU_DEP_2)
	v_fma_f64 v[250:251], v[88:89], v[76:77], -v[92:93]
	v_mul_f64_e32 v[88:89], v[88:89], v[78:79]
	v_add_f64_e32 v[129:130], v[165:166], v[250:251]
	s_delay_alu instid0(VALU_DEP_2) | instskip(SKIP_4) | instid1(VALU_DEP_1)
	v_fma_f64 v[127:128], v[90:91], v[76:77], v[88:89]
	s_clause 0x1
	global_load_b128 v[88:91], v32, s[8:9] offset:160
	global_load_b128 v[92:95], v32, s[8:9] offset:176
	v_add_f64_e64 v[133:134], v[165:166], -v[250:251]
	v_mul_f64_e32 v[139:140], s[36:37], v[133:134]
	v_mul_f64_e32 v[147:148], s[26:27], v[133:134]
	;; [unrolled: 1-line block ×3, first 2 shown]
	s_wait_loadcnt_dscnt 0x103
	v_mul_f64_e32 v[96:97], v[86:87], v[90:91]
	s_delay_alu instid0(VALU_DEP_1) | instskip(SKIP_1) | instid1(VALU_DEP_1)
	v_fma_f64 v[125:126], v[84:85], v[88:89], -v[96:97]
	v_mul_f64_e32 v[84:85], v[84:85], v[90:91]
	v_fma_f64 v[123:124], v[86:87], v[88:89], v[84:85]
	s_clause 0x1
	global_load_b128 v[84:87], v32, s[8:9] offset:208
	global_load_b128 v[96:99], v32, s[8:9] offset:192
	v_add_f64_e32 v[32:33], v[100:101], v[169:170]
	scratch_store_b64 off, v[32:33], off offset:128 ; 8-byte Folded Spill
	v_add_f64_e32 v[32:33], v[102:103], v[173:174]
	scratch_store_b64 off, v[32:33], off offset:136 ; 8-byte Folded Spill
	s_wait_loadcnt_dscnt 0x100
	v_mul_f64_e32 v[167:168], v[112:113], v[86:87]
	s_delay_alu instid0(VALU_DEP_1) | instskip(SKIP_1) | instid1(VALU_DEP_2)
	v_fma_f64 v[167:168], v[114:115], v[84:85], v[167:168]
	v_mul_f64_e32 v[114:115], v[114:115], v[86:87]
	v_add_f64_e32 v[207:208], v[173:174], v[167:168]
	s_delay_alu instid0(VALU_DEP_2) | instskip(SKIP_1) | instid1(VALU_DEP_2)
	v_fma_f64 v[112:113], v[112:113], v[84:85], -v[114:115]
	v_mul_f64_e32 v[114:115], v[110:111], v[94:95]
	v_add_f64_e32 v[183:184], v[169:170], v[112:113]
	s_delay_alu instid0(VALU_DEP_2) | instskip(SKIP_1) | instid1(VALU_DEP_2)
	v_fma_f64 v[114:115], v[108:109], v[92:93], -v[114:115]
	v_mul_f64_e32 v[108:109], v[108:109], v[94:95]
	v_add_f64_e64 v[254:255], v[40:41], -v[114:115]
	s_delay_alu instid0(VALU_DEP_2) | instskip(SKIP_2) | instid1(VALU_DEP_2)
	v_fma_f64 v[108:109], v[110:111], v[92:93], v[108:109]
	s_wait_loadcnt 0x0
	v_mul_f64_e32 v[110:111], v[106:107], v[98:99]
	v_add_f64_e64 v[252:253], v[42:43], -v[108:109]
	s_delay_alu instid0(VALU_DEP_2) | instskip(SKIP_1) | instid1(VALU_DEP_1)
	v_fma_f64 v[110:111], v[104:105], v[96:97], -v[110:111]
	v_mul_f64_e32 v[104:105], v[104:105], v[98:99]
	v_fma_f64 v[104:105], v[106:107], v[96:97], v[104:105]
	v_add_f64_e64 v[106:107], v[173:174], -v[167:168]
	s_delay_alu instid0(VALU_DEP_1)
	v_mul_f64_e32 v[171:172], s[28:29], v[106:107]
	v_mul_f64_e32 v[175:176], s[26:27], v[106:107]
	;; [unrolled: 1-line block ×6, first 2 shown]
	v_fma_f64 v[185:186], v[183:184], s[30:31], -v[171:172]
	v_fma_f64 v[187:188], v[183:184], s[30:31], v[171:172]
	v_fma_f64 v[189:190], v[183:184], s[14:15], -v[175:176]
	v_fma_f64 v[175:176], v[183:184], s[14:15], v[175:176]
	;; [unrolled: 2-line block ×6, first 2 shown]
	v_add_f64_e64 v[106:107], v[169:170], -v[112:113]
	v_add_f64_e32 v[185:186], v[100:101], v[185:186]
	v_add_f64_e32 v[32:33], v[100:101], v[187:188]
	v_add_f64_e32 v[228:229], v[100:101], v[189:190]
	v_add_f64_e32 v[232:233], v[100:101], v[175:176]
	v_add_f64_e32 v[236:237], v[100:101], v[191:192]
	v_add_f64_e32 v[240:241], v[100:101], v[193:194]
	v_add_f64_e32 v[169:170], v[100:101], v[195:196]
	v_add_f64_e32 v[193:194], v[100:101], v[183:184]
	v_mul_f64_e32 v[171:172], s[28:29], v[106:107]
	v_mul_f64_e32 v[181:182], s[24:25], v[106:107]
	;; [unrolled: 1-line block ×6, first 2 shown]
	scratch_store_b64 off, v[32:33], off offset:112 ; 8-byte Folded Spill
	v_fma_f64 v[211:212], v[207:208], s[30:31], -v[171:172]
	v_fma_f64 v[218:219], v[207:208], s[16:17], -v[181:182]
	v_fma_f64 v[209:210], v[207:208], s[30:31], v[171:172]
	v_fma_f64 v[213:214], v[207:208], s[14:15], v[179:180]
	v_fma_f64 v[179:180], v[207:208], s[14:15], -v[179:180]
	v_fma_f64 v[216:217], v[207:208], s[16:17], v[181:182]
	v_fma_f64 v[220:221], v[207:208], s[12:13], v[203:204]
	v_fma_f64 v[203:204], v[207:208], s[12:13], -v[203:204]
	v_fma_f64 v[222:223], v[207:208], s[10:11], v[205:206]
	v_fma_f64 v[205:206], v[207:208], s[10:11], -v[205:206]
	v_fma_f64 v[224:225], v[207:208], s[4:5], v[106:107]
	v_fma_f64 v[207:208], v[207:208], s[4:5], -v[106:107]
	v_add_f64_e32 v[32:33], v[102:103], v[211:212]
	v_add_f64_e32 v[226:227], v[102:103], v[209:210]
	;; [unrolled: 1-line block ×13, first 2 shown]
	scratch_store_b64 off, v[32:33], off offset:120 ; 8-byte Folded Spill
	v_add_f64_e32 v[32:33], v[100:101], v[177:178]
	v_dual_mov_b32 v178, v35 :: v_dual_mov_b32 v177, v34
	v_dual_mov_b32 v34, v50 :: v_dual_mov_b32 v35, v51
	scratch_store_b64 off, v[32:33], off offset:176 ; 8-byte Folded Spill
	v_add_f64_e32 v[32:33], v[102:103], v[218:219]
	scratch_store_b64 off, v[32:33], off offset:168 ; 8-byte Folded Spill
	v_add_f64_e32 v[32:33], v[102:103], v[207:208]
	v_add_f64_e64 v[207:208], v[38:39], -v[104:105]
	s_clause 0x1
	scratch_store_b64 off, v[32:33], off offset:200
	scratch_store_b64 off, v[38:39], off offset:160
	v_dual_mov_b32 v32, v36 :: v_dual_mov_b32 v33, v37
	v_mul_f64_e32 v[36:37], s[26:27], v[207:208]
	scratch_store_b64 off, v[40:41], off offset:184 ; 8-byte Folded Spill
	v_dual_mov_b32 v102, v135 :: v_dual_mov_b32 v103, v136
	v_add_f64_e32 v[100:101], v[32:33], v[110:111]
	v_add_f64_e64 v[209:210], v[32:33], -v[110:111]
	s_clause 0x1
	scratch_store_b64 off, v[32:33], off offset:152
	scratch_store_b64 off, v[42:43], off offset:192
	v_add_f64_e32 v[48:49], v[102:103], v[163:164]
	v_mul_f64_e32 v[224:225], s[22:23], v[207:208]
	scratch_store_b64 off, v[36:37], off offset:144 ; 8-byte Folded Spill
	v_fma_f64 v[175:176], v[100:101], s[14:15], -v[36:37]
	v_mul_f64_e32 v[246:247], s[26:27], v[209:210]
	v_dual_mov_b32 v36, v127 :: v_dual_mov_b32 v37, v128
	s_delay_alu instid0(VALU_DEP_1) | instskip(NEXT) | instid1(VALU_DEP_4)
	v_add_f64_e64 v[127:128], v[177:178], -v[36:37]
	v_add_f64_e32 v[187:188], v[175:176], v[185:186]
	v_add_f64_e32 v[175:176], v[38:39], v[104:105]
	v_mul_f64_e32 v[185:186], s[24:25], v[252:253]
	v_dual_mov_b32 v38, v123 :: v_dual_mov_b32 v39, v124
	scratch_store_b64 off, v[46:47], off offset:232 ; 8-byte Folded Spill
	v_mul_f64_e32 v[131:132], s[20:21], v[127:128]
	scratch_store_b64 off, v[38:39], off offset:216 ; 8-byte Folded Spill
	v_add_f64_e64 v[123:124], v[46:47], -v[38:39]
	s_clause 0x2
	scratch_store_b64 off, v[44:45], off offset:224
	scratch_store_b64 off, v[125:126], off offset:208
	;; [unrolled: 1-line block ×3, first 2 shown]
	v_add_f64_e32 v[36:37], v[177:178], v[36:37]
	v_mul_f64_e32 v[137:138], s[36:37], v[127:128]
	v_mul_f64_e32 v[145:146], s[26:27], v[127:128]
	;; [unrolled: 1-line block ×3, first 2 shown]
	v_fma_f64 v[183:184], v[175:176], s[14:15], v[246:247]
	s_wait_alu 0xfffe
	v_mul_f64_e32 v[32:33], s[34:35], v[123:124]
	s_delay_alu instid0(VALU_DEP_2) | instskip(SKIP_3) | instid1(VALU_DEP_3)
	v_add_f64_e32 v[199:200], v[183:184], v[226:227]
	v_add_f64_e32 v[183:184], v[40:41], v[114:115]
	v_add_f64_e64 v[40:41], v[102:103], -v[163:164]
	v_mul_f64_e32 v[226:227], s[22:23], v[209:210]
	v_fma_f64 v[189:190], v[183:184], s[16:17], -v[185:186]
	s_delay_alu instid0(VALU_DEP_3) | instskip(NEXT) | instid1(VALU_DEP_3)
	v_mul_f64_e32 v[141:142], s[44:45], v[40:41]
	v_fma_f64 v[222:223], v[175:176], s[12:13], v[226:227]
	v_mul_f64_e32 v[149:150], s[20:21], v[40:41]
	v_mul_f64_e32 v[155:156], s[42:43], v[40:41]
	v_add_f64_e32 v[203:204], v[189:190], v[187:188]
	v_add_f64_e32 v[187:188], v[42:43], v[108:109]
	v_mul_f64_e32 v[189:190], s[24:25], v[254:255]
	v_add_f64_e32 v[42:43], v[34:35], v[161:162]
	v_add_f64_e32 v[222:223], v[222:223], v[230:231]
	s_delay_alu instid0(VALU_DEP_3) | instskip(NEXT) | instid1(VALU_DEP_1)
	v_fma_f64 v[201:202], v[187:188], s[16:17], v[189:190]
	v_add_f64_e32 v[216:217], v[201:202], v[199:200]
	v_add_f64_e32 v[199:200], v[44:45], v[125:126]
	v_mul_f64_e32 v[201:202], s[22:23], v[123:124]
	v_add_f64_e64 v[125:126], v[44:45], -v[125:126]
	v_mul_f64_e32 v[44:45], s[18:19], v[40:41]
	s_delay_alu instid0(VALU_DEP_3) | instskip(NEXT) | instid1(VALU_DEP_3)
	v_fma_f64 v[205:206], v[199:200], s[12:13], -v[201:202]
	v_mul_f64_e32 v[135:136], s[34:35], v[125:126]
	v_mul_f64_e32 v[248:249], s[44:45], v[125:126]
	;; [unrolled: 1-line block ×3, first 2 shown]
	s_delay_alu instid0(VALU_DEP_4) | instskip(SKIP_4) | instid1(VALU_DEP_3)
	v_add_f64_e32 v[218:219], v[205:206], v[203:204]
	v_add_f64_e32 v[203:204], v[46:47], v[38:39]
	v_mul_f64_e32 v[205:206], s[22:23], v[125:126]
	v_mul_f64_e32 v[38:39], s[20:21], v[133:134]
	v_fma_f64 v[46:47], v[42:43], s[4:5], -v[44:45]
	v_fma_f64 v[220:221], v[203:204], s[12:13], v[205:206]
	s_delay_alu instid0(VALU_DEP_1) | instskip(SKIP_1) | instid1(VALU_DEP_1)
	v_add_f64_e32 v[216:217], v[220:221], v[216:217]
	v_fma_f64 v[220:221], v[129:130], s[10:11], -v[131:132]
	v_add_f64_e32 v[218:219], v[220:221], v[218:219]
	v_fma_f64 v[220:221], v[36:37], s[10:11], v[38:39]
	s_delay_alu instid0(VALU_DEP_1) | instskip(NEXT) | instid1(VALU_DEP_3)
	v_add_f64_e32 v[220:221], v[220:221], v[216:217]
	v_add_f64_e32 v[216:217], v[46:47], v[218:219]
	v_add_f64_e64 v[46:47], v[34:35], -v[161:162]
	s_delay_alu instid0(VALU_DEP_1) | instskip(SKIP_1) | instid1(VALU_DEP_2)
	v_mul_f64_e32 v[50:51], s[18:19], v[46:47]
	v_mul_f64_e32 v[143:144], s[44:45], v[46:47]
	v_fma_f64 v[218:219], v[48:49], s[4:5], v[50:51]
	s_delay_alu instid0(VALU_DEP_1) | instskip(SKIP_1) | instid1(VALU_DEP_1)
	v_add_f64_e32 v[218:219], v[218:219], v[220:221]
	v_fma_f64 v[220:221], v[100:101], s[12:13], -v[224:225]
	v_add_f64_e32 v[220:221], v[220:221], v[228:229]
	v_mul_f64_e32 v[228:229], s[18:19], v[252:253]
	s_delay_alu instid0(VALU_DEP_1) | instskip(NEXT) | instid1(VALU_DEP_1)
	v_fma_f64 v[230:231], v[183:184], s[4:5], -v[228:229]
	v_add_f64_e32 v[220:221], v[230:231], v[220:221]
	v_mul_f64_e32 v[230:231], s[18:19], v[254:255]
	s_delay_alu instid0(VALU_DEP_1) | instskip(NEXT) | instid1(VALU_DEP_1)
	v_fma_f64 v[106:107], v[187:188], s[4:5], v[230:231]
	v_add_f64_e32 v[106:107], v[106:107], v[222:223]
	v_fma_f64 v[222:223], v[199:200], s[10:11], -v[32:33]
	v_fma_f64 v[32:33], v[199:200], s[10:11], v[32:33]
	s_delay_alu instid0(VALU_DEP_2) | instskip(SKIP_1) | instid1(VALU_DEP_1)
	v_add_f64_e32 v[220:221], v[222:223], v[220:221]
	v_fma_f64 v[222:223], v[203:204], s[10:11], v[135:136]
	v_add_f64_e32 v[106:107], v[222:223], v[106:107]
	v_fma_f64 v[222:223], v[129:130], s[16:17], -v[137:138]
	s_delay_alu instid0(VALU_DEP_1) | instskip(SKIP_1) | instid1(VALU_DEP_1)
	v_add_f64_e32 v[220:221], v[222:223], v[220:221]
	v_fma_f64 v[222:223], v[36:37], s[16:17], v[139:140]
	v_add_f64_e32 v[106:107], v[222:223], v[106:107]
	v_fma_f64 v[222:223], v[42:43], s[30:31], -v[141:142]
	s_delay_alu instid0(VALU_DEP_1) | instskip(SKIP_1) | instid1(VALU_DEP_1)
	v_add_f64_e32 v[220:221], v[222:223], v[220:221]
	v_fma_f64 v[222:223], v[48:49], s[30:31], v[143:144]
	v_add_f64_e32 v[222:223], v[222:223], v[106:107]
	v_fma_f64 v[106:107], v[100:101], s[12:13], v[224:225]
	v_fma_f64 v[224:225], v[175:176], s[12:13], -v[226:227]
	v_fma_f64 v[226:227], v[183:184], s[4:5], v[228:229]
	s_delay_alu instid0(VALU_DEP_3) | instskip(NEXT) | instid1(VALU_DEP_3)
	v_add_f64_e32 v[106:107], v[106:107], v[232:233]
	v_add_f64_e32 v[224:225], v[224:225], v[234:235]
	s_delay_alu instid0(VALU_DEP_2) | instskip(SKIP_1) | instid1(VALU_DEP_2)
	v_add_f64_e32 v[106:107], v[226:227], v[106:107]
	v_fma_f64 v[226:227], v[187:188], s[4:5], -v[230:231]
	v_add_f64_e32 v[32:33], v[32:33], v[106:107]
	s_delay_alu instid0(VALU_DEP_2) | instskip(SKIP_3) | instid1(VALU_DEP_3)
	v_add_f64_e32 v[224:225], v[226:227], v[224:225]
	v_fma_f64 v[106:107], v[203:204], s[10:11], -v[135:136]
	v_fma_f64 v[135:136], v[129:130], s[16:17], v[137:138]
	v_fma_f64 v[137:138], v[48:49], s[30:31], -v[143:144]
	v_add_f64_e32 v[106:107], v[106:107], v[224:225]
	s_delay_alu instid0(VALU_DEP_3) | instskip(SKIP_2) | instid1(VALU_DEP_2)
	v_add_f64_e32 v[32:33], v[135:136], v[32:33]
	v_fma_f64 v[135:136], v[36:37], s[16:17], -v[139:140]
	v_mul_f64_e32 v[139:140], s[38:39], v[252:253]
	v_add_f64_e32 v[106:107], v[135:136], v[106:107]
	v_fma_f64 v[135:136], v[42:43], s[30:31], v[141:142]
	s_delay_alu instid0(VALU_DEP_3) | instskip(NEXT) | instid1(VALU_DEP_3)
	v_fma_f64 v[141:142], v[183:184], s[12:13], -v[139:140]
	v_add_f64_e32 v[226:227], v[137:138], v[106:107]
	s_delay_alu instid0(VALU_DEP_3) | instskip(SKIP_2) | instid1(VALU_DEP_2)
	v_add_f64_e32 v[224:225], v[135:136], v[32:33]
	v_mul_f64_e32 v[32:33], s[18:19], v[207:208]
	v_mul_f64_e32 v[135:136], s[18:19], v[209:210]
	v_fma_f64 v[106:107], v[100:101], s[4:5], -v[32:33]
	s_delay_alu instid0(VALU_DEP_2) | instskip(SKIP_1) | instid1(VALU_DEP_3)
	v_fma_f64 v[137:138], v[175:176], s[4:5], v[135:136]
	v_fma_f64 v[32:33], v[100:101], s[4:5], v[32:33]
	v_add_f64_e32 v[106:107], v[106:107], v[236:237]
	s_delay_alu instid0(VALU_DEP_3) | instskip(SKIP_2) | instid1(VALU_DEP_4)
	v_add_f64_e32 v[137:138], v[137:138], v[238:239]
	v_mul_f64_e32 v[238:239], s[44:45], v[252:253]
	v_mul_f64_e32 v[236:237], s[34:35], v[209:210]
	v_add_f64_e32 v[106:107], v[141:142], v[106:107]
	v_mul_f64_e32 v[141:142], s[38:39], v[254:255]
	s_delay_alu instid0(VALU_DEP_3) | instskip(NEXT) | instid1(VALU_DEP_2)
	v_fma_f64 v[234:235], v[175:176], s[10:11], v[236:237]
	v_fma_f64 v[143:144], v[187:188], s[12:13], v[141:142]
	s_delay_alu instid0(VALU_DEP_2) | instskip(NEXT) | instid1(VALU_DEP_2)
	v_add_f64_e32 v[234:235], v[234:235], v[242:243]
	v_add_f64_e32 v[137:138], v[143:144], v[137:138]
	v_mul_f64_e32 v[143:144], s[44:45], v[123:124]
	s_delay_alu instid0(VALU_DEP_1) | instskip(NEXT) | instid1(VALU_DEP_1)
	v_fma_f64 v[228:229], v[199:200], s[30:31], -v[143:144]
	v_add_f64_e32 v[106:107], v[228:229], v[106:107]
	v_fma_f64 v[228:229], v[203:204], s[30:31], v[248:249]
	s_delay_alu instid0(VALU_DEP_1) | instskip(SKIP_1) | instid1(VALU_DEP_1)
	v_add_f64_e32 v[137:138], v[228:229], v[137:138]
	v_fma_f64 v[228:229], v[129:130], s[14:15], -v[145:146]
	v_add_f64_e32 v[106:107], v[228:229], v[106:107]
	v_fma_f64 v[228:229], v[36:37], s[14:15], v[147:148]
	s_delay_alu instid0(VALU_DEP_1) | instskip(SKIP_1) | instid1(VALU_DEP_1)
	v_add_f64_e32 v[137:138], v[228:229], v[137:138]
	v_fma_f64 v[228:229], v[42:43], s[10:11], -v[149:150]
	v_add_f64_e32 v[228:229], v[228:229], v[106:107]
	v_mul_f64_e32 v[106:107], s[20:21], v[46:47]
	s_delay_alu instid0(VALU_DEP_1) | instskip(SKIP_1) | instid1(VALU_DEP_2)
	v_fma_f64 v[230:231], v[48:49], s[10:11], v[106:107]
	v_fma_f64 v[106:107], v[48:49], s[10:11], -v[106:107]
	v_add_f64_e32 v[230:231], v[230:231], v[137:138]
	v_mul_f64_e32 v[137:138], s[34:35], v[207:208]
	s_delay_alu instid0(VALU_DEP_1) | instskip(SKIP_1) | instid1(VALU_DEP_2)
	v_fma_f64 v[232:233], v[100:101], s[10:11], -v[137:138]
	v_fma_f64 v[137:138], v[100:101], s[10:11], v[137:138]
	v_add_f64_e32 v[232:233], v[232:233], v[240:241]
	v_fma_f64 v[240:241], v[183:184], s[30:31], -v[238:239]
	s_delay_alu instid0(VALU_DEP_3) | instskip(SKIP_1) | instid1(VALU_DEP_3)
	v_add_f64_e32 v[137:138], v[137:138], v[169:170]
	v_fma_f64 v[169:170], v[175:176], s[10:11], -v[236:237]
	v_add_f64_e32 v[232:233], v[240:241], v[232:233]
	v_mul_f64_e32 v[240:241], s[44:45], v[254:255]
	s_delay_alu instid0(VALU_DEP_3) | instskip(SKIP_1) | instid1(VALU_DEP_3)
	v_add_f64_e32 v[169:170], v[169:170], v[171:172]
	v_fma_f64 v[171:172], v[183:184], s[30:31], v[238:239]
	v_fma_f64 v[242:243], v[187:188], s[30:31], v[240:241]
	s_delay_alu instid0(VALU_DEP_2) | instskip(SKIP_1) | instid1(VALU_DEP_3)
	v_add_f64_e32 v[137:138], v[171:172], v[137:138]
	v_fma_f64 v[171:172], v[187:188], s[30:31], -v[240:241]
	v_add_f64_e32 v[234:235], v[242:243], v[234:235]
	v_mul_f64_e32 v[242:243], s[24:25], v[123:124]
	s_delay_alu instid0(VALU_DEP_3) | instskip(NEXT) | instid1(VALU_DEP_2)
	v_add_f64_e32 v[169:170], v[171:172], v[169:170]
	v_fma_f64 v[173:174], v[199:200], s[16:17], -v[242:243]
	v_fma_f64 v[171:172], v[199:200], s[16:17], v[242:243]
	s_delay_alu instid0(VALU_DEP_2) | instskip(SKIP_2) | instid1(VALU_DEP_4)
	v_add_f64_e32 v[173:174], v[173:174], v[232:233]
	v_fma_f64 v[232:233], v[203:204], s[16:17], v[151:152]
	v_fma_f64 v[151:152], v[203:204], s[16:17], -v[151:152]
	v_add_f64_e32 v[137:138], v[171:172], v[137:138]
	s_delay_alu instid0(VALU_DEP_3) | instskip(SKIP_1) | instid1(VALU_DEP_4)
	v_add_f64_e32 v[232:233], v[232:233], v[234:235]
	v_fma_f64 v[234:235], v[129:130], s[4:5], -v[244:245]
	v_add_f64_e32 v[151:152], v[151:152], v[169:170]
	v_fma_f64 v[169:170], v[129:130], s[4:5], v[244:245]
	v_mul_f64_e32 v[244:245], s[22:23], v[40:41]
	v_mul_f64_e32 v[40:41], s[36:37], v[40:41]
	v_add_f64_e32 v[173:174], v[234:235], v[173:174]
	v_fma_f64 v[234:235], v[36:37], s[4:5], v[153:154]
	v_fma_f64 v[153:154], v[36:37], s[4:5], -v[153:154]
	v_add_f64_e32 v[137:138], v[169:170], v[137:138]
	v_mul_f64_e32 v[169:170], s[26:27], v[252:253]
	s_delay_alu instid0(VALU_DEP_4) | instskip(SKIP_4) | instid1(VALU_DEP_4)
	v_add_f64_e32 v[234:235], v[234:235], v[232:233]
	v_fma_f64 v[232:233], v[42:43], s[14:15], -v[155:156]
	v_add_f64_e32 v[151:152], v[153:154], v[151:152]
	v_fma_f64 v[153:154], v[42:43], s[14:15], v[155:156]
	v_fma_f64 v[171:172], v[183:184], s[14:15], -v[169:170]
	v_add_f64_e32 v[232:233], v[232:233], v[173:174]
	v_mul_f64_e32 v[173:174], s[42:43], v[46:47]
	s_delay_alu instid0(VALU_DEP_4) | instskip(SKIP_2) | instid1(VALU_DEP_4)
	v_add_f64_e32 v[236:237], v[153:154], v[137:138]
	v_mul_f64_e32 v[137:138], s[36:37], v[207:208]
	v_mul_f64_e32 v[153:154], s[36:37], v[209:210]
	v_fma_f64 v[155:156], v[48:49], s[14:15], -v[173:174]
	v_fma_f64 v[191:192], v[48:49], s[14:15], v[173:174]
	s_delay_alu instid0(VALU_DEP_2) | instskip(SKIP_2) | instid1(VALU_DEP_4)
	v_add_f64_e32 v[238:239], v[155:156], v[151:152]
	v_fma_f64 v[151:152], v[100:101], s[16:17], -v[137:138]
	v_fma_f64 v[155:156], v[175:176], s[16:17], v[153:154]
	v_add_f64_e32 v[234:235], v[191:192], v[234:235]
	v_fma_f64 v[137:138], v[100:101], s[16:17], v[137:138]
	v_fma_f64 v[153:154], v[175:176], s[16:17], -v[153:154]
	v_add_f64_e32 v[151:152], v[151:152], v[179:180]
	v_add_f64_e32 v[155:156], v[155:156], v[181:182]
	s_delay_alu instid0(VALU_DEP_4) | instskip(NEXT) | instid1(VALU_DEP_4)
	v_add_f64_e32 v[137:138], v[137:138], v[213:214]
	v_add_f64_e32 v[153:154], v[153:154], v[211:212]
	s_delay_alu instid0(VALU_DEP_4) | instskip(SKIP_1) | instid1(VALU_DEP_1)
	v_add_f64_e32 v[151:152], v[171:172], v[151:152]
	v_mul_f64_e32 v[171:172], s[26:27], v[254:255]
	v_fma_f64 v[173:174], v[187:188], s[14:15], v[171:172]
	s_delay_alu instid0(VALU_DEP_1) | instskip(SKIP_2) | instid1(VALU_DEP_2)
	v_add_f64_e32 v[155:156], v[173:174], v[155:156]
	v_mul_f64_e32 v[173:174], s[40:41], v[123:124]
	v_mul_f64_e32 v[123:124], s[42:43], v[123:124]
	v_fma_f64 v[179:180], v[199:200], s[4:5], -v[173:174]
	s_delay_alu instid0(VALU_DEP_1) | instskip(SKIP_2) | instid1(VALU_DEP_2)
	v_add_f64_e32 v[151:152], v[179:180], v[151:152]
	v_mul_f64_e32 v[179:180], s[40:41], v[125:126]
	v_mul_f64_e32 v[125:126], s[42:43], v[125:126]
	v_fma_f64 v[181:182], v[203:204], s[4:5], v[179:180]
	s_delay_alu instid0(VALU_DEP_1) | instskip(SKIP_2) | instid1(VALU_DEP_2)
	v_add_f64_e32 v[155:156], v[181:182], v[155:156]
	v_mul_f64_e32 v[181:182], s[44:45], v[127:128]
	v_mul_f64_e32 v[127:128], s[22:23], v[127:128]
	v_fma_f64 v[191:192], v[129:130], s[30:31], -v[181:182]
	s_delay_alu instid0(VALU_DEP_1) | instskip(SKIP_2) | instid1(VALU_DEP_2)
	v_add_f64_e32 v[151:152], v[191:192], v[151:152]
	v_mul_f64_e32 v[191:192], s[44:45], v[133:134]
	v_mul_f64_e32 v[133:134], s[22:23], v[133:134]
	v_fma_f64 v[240:241], v[36:37], s[30:31], v[191:192]
	s_delay_alu instid0(VALU_DEP_1) | instskip(SKIP_1) | instid1(VALU_DEP_1)
	v_add_f64_e32 v[155:156], v[240:241], v[155:156]
	v_fma_f64 v[240:241], v[42:43], s[12:13], -v[244:245]
	v_add_f64_e32 v[240:241], v[240:241], v[151:152]
	v_mul_f64_e32 v[151:152], s[22:23], v[46:47]
	v_mul_f64_e32 v[46:47], s[36:37], v[46:47]
	s_delay_alu instid0(VALU_DEP_2) | instskip(SKIP_1) | instid1(VALU_DEP_2)
	v_fma_f64 v[242:243], v[48:49], s[12:13], v[151:152]
	v_fma_f64 v[151:152], v[48:49], s[12:13], -v[151:152]
	v_add_f64_e32 v[242:243], v[242:243], v[155:156]
	v_fma_f64 v[155:156], v[183:184], s[14:15], v[169:170]
	v_mul_f64_e32 v[169:170], s[20:21], v[252:253]
	s_delay_alu instid0(VALU_DEP_2) | instskip(SKIP_1) | instid1(VALU_DEP_3)
	v_add_f64_e32 v[137:138], v[155:156], v[137:138]
	v_fma_f64 v[155:156], v[187:188], s[14:15], -v[171:172]
	v_fma_f64 v[171:172], v[183:184], s[10:11], -v[169:170]
	s_delay_alu instid0(VALU_DEP_2) | instskip(SKIP_1) | instid1(VALU_DEP_1)
	v_add_f64_e32 v[153:154], v[155:156], v[153:154]
	v_fma_f64 v[155:156], v[199:200], s[4:5], v[173:174]
	v_add_f64_e32 v[137:138], v[155:156], v[137:138]
	v_fma_f64 v[155:156], v[203:204], s[4:5], -v[179:180]
	s_delay_alu instid0(VALU_DEP_1) | instskip(SKIP_1) | instid1(VALU_DEP_1)
	v_add_f64_e32 v[153:154], v[155:156], v[153:154]
	v_fma_f64 v[155:156], v[129:130], s[30:31], v[181:182]
	v_add_f64_e32 v[137:138], v[155:156], v[137:138]
	v_fma_f64 v[155:156], v[36:37], s[30:31], -v[191:192]
	s_delay_alu instid0(VALU_DEP_1) | instskip(SKIP_1) | instid1(VALU_DEP_2)
	v_add_f64_e32 v[153:154], v[155:156], v[153:154]
	v_fma_f64 v[155:156], v[42:43], s[12:13], v[244:245]
	v_add_f64_e32 v[213:214], v[151:152], v[153:154]
	s_delay_alu instid0(VALU_DEP_2) | instskip(SKIP_2) | instid1(VALU_DEP_2)
	v_add_f64_e32 v[211:212], v[155:156], v[137:138]
	v_mul_f64_e32 v[137:138], s[44:45], v[207:208]
	v_mul_f64_e32 v[153:154], s[44:45], v[209:210]
	v_fma_f64 v[151:152], v[100:101], s[30:31], -v[137:138]
	s_delay_alu instid0(VALU_DEP_2) | instskip(SKIP_1) | instid1(VALU_DEP_3)
	v_fma_f64 v[155:156], v[175:176], s[30:31], v[153:154]
	v_fma_f64 v[137:138], v[100:101], s[30:31], v[137:138]
	v_add_f64_e32 v[151:152], v[151:152], v[197:198]
	s_delay_alu instid0(VALU_DEP_3) | instskip(NEXT) | instid1(VALU_DEP_3)
	v_add_f64_e32 v[155:156], v[155:156], v[195:196]
	v_add_f64_e32 v[137:138], v[137:138], v[193:194]
	s_delay_alu instid0(VALU_DEP_3) | instskip(SKIP_1) | instid1(VALU_DEP_1)
	v_add_f64_e32 v[151:152], v[171:172], v[151:152]
	v_mul_f64_e32 v[171:172], s[20:21], v[254:255]
	v_fma_f64 v[173:174], v[187:188], s[10:11], v[171:172]
	s_delay_alu instid0(VALU_DEP_1) | instskip(SKIP_2) | instid1(VALU_DEP_2)
	v_add_f64_e32 v[155:156], v[173:174], v[155:156]
	v_fma_f64 v[173:174], v[199:200], s[14:15], -v[123:124]
	v_fma_f64 v[123:124], v[199:200], s[14:15], v[123:124]
	v_add_f64_e32 v[151:152], v[173:174], v[151:152]
	v_fma_f64 v[173:174], v[203:204], s[14:15], v[125:126]
	v_fma_f64 v[125:126], v[203:204], s[14:15], -v[125:126]
	s_delay_alu instid0(VALU_DEP_2) | instskip(SKIP_2) | instid1(VALU_DEP_2)
	v_add_f64_e32 v[155:156], v[173:174], v[155:156]
	v_fma_f64 v[173:174], v[129:130], s[12:13], -v[127:128]
	v_fma_f64 v[127:128], v[129:130], s[12:13], v[127:128]
	v_add_f64_e32 v[151:152], v[173:174], v[151:152]
	v_fma_f64 v[173:174], v[36:37], s[12:13], v[133:134]
	s_delay_alu instid0(VALU_DEP_1) | instskip(SKIP_2) | instid1(VALU_DEP_2)
	v_add_f64_e32 v[155:156], v[173:174], v[155:156]
	v_fma_f64 v[173:174], v[42:43], s[16:17], -v[40:41]
	v_fma_f64 v[40:41], v[42:43], s[16:17], v[40:41]
	v_add_f64_e32 v[195:196], v[173:174], v[151:152]
	v_fma_f64 v[151:152], v[48:49], s[16:17], v[46:47]
	v_fma_f64 v[46:47], v[48:49], s[16:17], -v[46:47]
	s_delay_alu instid0(VALU_DEP_2)
	v_add_f64_e32 v[197:198], v[151:152], v[155:156]
	v_fma_f64 v[151:152], v[175:176], s[30:31], -v[153:154]
	scratch_load_b64 v[153:154], off, off offset:200 th:TH_LOAD_LU ; 8-byte Folded Reload
	s_wait_loadcnt 0x0
	v_add_f64_e32 v[151:152], v[151:152], v[153:154]
	v_fma_f64 v[153:154], v[183:184], s[10:11], v[169:170]
	s_delay_alu instid0(VALU_DEP_1) | instskip(SKIP_1) | instid1(VALU_DEP_2)
	v_add_f64_e32 v[137:138], v[153:154], v[137:138]
	v_fma_f64 v[153:154], v[187:188], s[10:11], -v[171:172]
	v_add_f64_e32 v[123:124], v[123:124], v[137:138]
	s_delay_alu instid0(VALU_DEP_2) | instskip(NEXT) | instid1(VALU_DEP_2)
	v_add_f64_e32 v[151:152], v[153:154], v[151:152]
	v_add_f64_e32 v[123:124], v[127:128], v[123:124]
	s_delay_alu instid0(VALU_DEP_2) | instskip(SKIP_1) | instid1(VALU_DEP_3)
	v_add_f64_e32 v[125:126], v[125:126], v[151:152]
	v_fma_f64 v[127:128], v[36:37], s[12:13], -v[133:134]
	v_add_f64_e32 v[191:192], v[40:41], v[123:124]
	scratch_load_b64 v[40:41], off, off offset:176 th:TH_LOAD_LU ; 8-byte Folded Reload
	v_add_f64_e32 v[125:126], v[127:128], v[125:126]
	s_delay_alu instid0(VALU_DEP_1)
	v_add_f64_e32 v[193:194], v[46:47], v[125:126]
	scratch_load_b64 v[46:47], off, off offset:168 th:TH_LOAD_LU ; 8-byte Folded Reload
	s_wait_loadcnt 0x1
	v_add_f64_e32 v[32:33], v[32:33], v[40:41]
	v_fma_f64 v[40:41], v[175:176], s[4:5], -v[135:136]
	s_wait_loadcnt 0x0
	s_delay_alu instid0(VALU_DEP_1) | instskip(SKIP_1) | instid1(VALU_DEP_1)
	v_add_f64_e32 v[40:41], v[40:41], v[46:47]
	v_fma_f64 v[46:47], v[183:184], s[12:13], v[139:140]
	v_add_f64_e32 v[32:33], v[46:47], v[32:33]
	v_fma_f64 v[46:47], v[187:188], s[12:13], -v[141:142]
	s_delay_alu instid0(VALU_DEP_1) | instskip(SKIP_1) | instid1(VALU_DEP_1)
	v_add_f64_e32 v[40:41], v[46:47], v[40:41]
	v_fma_f64 v[46:47], v[199:200], s[30:31], v[143:144]
	v_add_f64_e32 v[32:33], v[46:47], v[32:33]
	v_fma_f64 v[46:47], v[203:204], s[30:31], -v[248:249]
	;; [unrolled: 5-line block ×3, first 2 shown]
	v_fma_f64 v[36:37], v[36:37], s[10:11], -v[38:39]
	v_fma_f64 v[38:39], v[42:43], s[4:5], v[44:45]
	s_delay_alu instid0(VALU_DEP_3) | instskip(SKIP_2) | instid1(VALU_DEP_3)
	v_add_f64_e32 v[40:41], v[46:47], v[40:41]
	v_fma_f64 v[46:47], v[42:43], s[10:11], v[149:150]
	v_fma_f64 v[42:43], v[48:49], s[4:5], -v[50:51]
	v_add_f64_e32 v[181:182], v[106:107], v[40:41]
	s_delay_alu instid0(VALU_DEP_3)
	v_add_f64_e32 v[179:180], v[46:47], v[32:33]
	s_clause 0x1
	scratch_load_b64 v[32:33], off, off offset:128 th:TH_LOAD_LU
	scratch_load_b64 v[40:41], off, off offset:152 th:TH_LOAD_LU
	s_wait_loadcnt 0x0
	v_add_f64_e32 v[32:33], v[32:33], v[40:41]
	s_clause 0x1
	scratch_load_b64 v[40:41], off, off offset:136 th:TH_LOAD_LU
	scratch_load_b64 v[46:47], off, off offset:160 th:TH_LOAD_LU
	s_wait_loadcnt 0x0
	v_add_f64_e32 v[40:41], v[40:41], v[46:47]
	scratch_load_b64 v[46:47], off, off offset:184 th:TH_LOAD_LU ; 8-byte Folded Reload
	s_wait_loadcnt 0x0
	v_add_f64_e32 v[32:33], v[32:33], v[46:47]
	scratch_load_b64 v[46:47], off, off offset:192 th:TH_LOAD_LU ; 8-byte Folded Reload
	;; [unrolled: 3-line block ×4, first 2 shown]
	v_add_f64_e32 v[32:33], v[32:33], v[165:166]
	s_delay_alu instid0(VALU_DEP_1) | instskip(SKIP_2) | instid1(VALU_DEP_1)
	v_add_f64_e32 v[32:33], v[32:33], v[34:35]
	scratch_load_b64 v[34:35], off, off offset:240 th:TH_LOAD_LU ; 8-byte Folded Reload
	v_add_f64_e32 v[32:33], v[32:33], v[161:162]
	v_add_f64_e32 v[32:33], v[32:33], v[250:251]
	s_wait_loadcnt 0x1
	v_add_f64_e32 v[40:41], v[40:41], v[46:47]
	v_fma_f64 v[46:47], v[187:188], s[16:17], -v[189:190]
	s_delay_alu instid0(VALU_DEP_2) | instskip(NEXT) | instid1(VALU_DEP_1)
	v_add_f64_e32 v[40:41], v[40:41], v[177:178]
	v_add_f64_e32 v[40:41], v[40:41], v[102:103]
	v_fma_f64 v[102:103], v[203:204], s[12:13], -v[205:206]
	s_delay_alu instid0(VALU_DEP_2) | instskip(SKIP_1) | instid1(VALU_DEP_1)
	v_add_f64_e32 v[40:41], v[40:41], v[163:164]
	s_wait_loadcnt 0x0
	v_add_f64_e32 v[34:35], v[40:41], v[34:35]
	scratch_load_b64 v[40:41], off, off offset:208 th:TH_LOAD_LU ; 8-byte Folded Reload
	s_wait_loadcnt 0x0
	v_add_f64_e32 v[32:33], v[32:33], v[40:41]
	scratch_load_b64 v[40:41], off, off offset:216 th:TH_LOAD_LU ; 8-byte Folded Reload
	v_add_f64_e32 v[32:33], v[32:33], v[114:115]
	s_delay_alu instid0(VALU_DEP_1) | instskip(SKIP_3) | instid1(VALU_DEP_2)
	v_add_f64_e32 v[32:33], v[32:33], v[110:111]
	s_wait_loadcnt 0x0
	v_add_f64_e32 v[34:35], v[34:35], v[40:41]
	v_fma_f64 v[40:41], v[183:184], s[16:17], v[185:186]
	v_add_f64_e32 v[34:35], v[34:35], v[108:109]
	s_delay_alu instid0(VALU_DEP_4) | instskip(SKIP_2) | instid1(VALU_DEP_1)
	v_add_f64_e32 v[108:109], v[32:33], v[112:113]
	scratch_load_b64 v[32:33], off, off offset:144 th:TH_LOAD_LU ; 8-byte Folded Reload
	v_add_f64_e32 v[34:35], v[34:35], v[104:105]
	v_add_f64_e32 v[110:111], v[34:35], v[167:168]
	v_fma_f64 v[34:35], v[175:176], s[14:15], -v[246:247]
	s_wait_loadcnt 0x0
	v_fma_f64 v[32:33], v[100:101], s[14:15], v[32:33]
	scratch_load_b64 v[100:101], off, off offset:112 th:TH_LOAD_LU ; 8-byte Folded Reload
	s_wait_loadcnt 0x0
	v_add_f64_e32 v[32:33], v[32:33], v[100:101]
	scratch_load_b64 v[100:101], off, off offset:120 th:TH_LOAD_LU ; 8-byte Folded Reload
	global_wb scope:SCOPE_SE
	s_wait_loadcnt 0x0
	s_wait_storecnt 0x0
	s_barrier_signal -1
	s_barrier_wait -1
	global_inv scope:SCOPE_SE
	v_add_f64_e32 v[32:33], v[40:41], v[32:33]
	v_fma_f64 v[40:41], v[129:130], s[10:11], v[131:132]
	v_add_f64_e32 v[34:35], v[34:35], v[100:101]
	v_fma_f64 v[100:101], v[199:200], s[12:13], v[201:202]
	s_delay_alu instid0(VALU_DEP_2) | instskip(NEXT) | instid1(VALU_DEP_2)
	v_add_f64_e32 v[34:35], v[46:47], v[34:35]
	v_add_f64_e32 v[32:33], v[100:101], v[32:33]
	s_delay_alu instid0(VALU_DEP_2) | instskip(NEXT) | instid1(VALU_DEP_2)
	v_add_f64_e32 v[34:35], v[102:103], v[34:35]
	v_add_f64_e32 v[32:33], v[40:41], v[32:33]
	;; [unrolled: 3-line block ×3, first 2 shown]
	v_lshrrev_b32_e32 v32, 2, v118
	s_delay_alu instid0(VALU_DEP_1) | instskip(NEXT) | instid1(VALU_DEP_1)
	v_mul_u32_u24_e32 v32, 52, v32
	v_or_b32_e32 v32, v32, v119
	s_delay_alu instid0(VALU_DEP_1)
	v_lshl_add_u32 v32, v32, 4, 0
	v_add_f64_e32 v[102:103], v[42:43], v[34:35]
	ds_store_b128 v32, v[220:223] offset:128
	ds_store_b128 v32, v[228:231] offset:192
	;; [unrolled: 1-line block ×11, first 2 shown]
	ds_store_b128 v32, v[108:111]
	ds_store_b128 v32, v[100:103] offset:768
	s_and_saveexec_b32 s1, s0
	s_cbranch_execz .LBB0_31
; %bb.30:
	s_clause 0x1
	scratch_load_b128 v[36:39], off, off offset:48 th:TH_LOAD_LU
	scratch_load_b128 v[44:47], off, off offset:96 th:TH_LOAD_LU
	v_mul_f64_e32 v[32:33], v[24:25], v[54:55]
	s_delay_alu instid0(VALU_DEP_1) | instskip(SKIP_2) | instid1(VALU_DEP_2)
	v_fma_f64 v[100:101], v[26:27], v[52:53], v[32:33]
	v_mul_f64_e32 v[32:33], v[28:29], v[70:71]
	v_mul_f64_e32 v[26:27], v[26:27], v[54:55]
	v_fma_f64 v[32:33], v[30:31], v[68:69], v[32:33]
	v_mul_f64_e32 v[30:31], v[30:31], v[70:71]
	s_delay_alu instid0(VALU_DEP_3) | instskip(SKIP_2) | instid1(VALU_DEP_4)
	v_fma_f64 v[102:103], v[24:25], v[52:53], -v[26:27]
	v_mul_f64_e32 v[24:25], v[12:13], v[74:75]
	v_mul_f64_e32 v[26:27], v[159:160], v[82:83]
	v_fma_f64 v[30:31], v[28:29], v[68:69], -v[30:31]
	v_mul_f64_e32 v[28:29], v[16:17], v[78:79]
	s_delay_alu instid0(VALU_DEP_4) | instskip(SKIP_2) | instid1(VALU_DEP_4)
	v_fma_f64 v[24:25], v[14:15], v[72:73], v[24:25]
	v_mul_f64_e32 v[14:15], v[14:15], v[74:75]
	v_fma_f64 v[26:27], v[157:158], v[80:81], -v[26:27]
	v_fma_f64 v[28:29], v[18:19], v[76:77], v[28:29]
	v_mul_f64_e32 v[18:19], v[18:19], v[78:79]
	s_delay_alu instid0(VALU_DEP_4) | instskip(SKIP_1) | instid1(VALU_DEP_4)
	v_fma_f64 v[12:13], v[12:13], v[72:73], -v[14:15]
	v_mul_f64_e32 v[14:15], v[157:158], v[82:83]
	v_add_f64_e32 v[143:144], v[32:33], v[28:29]
	s_delay_alu instid0(VALU_DEP_4) | instskip(SKIP_1) | instid1(VALU_DEP_4)
	v_fma_f64 v[16:17], v[16:17], v[76:77], -v[18:19]
	v_mul_f64_e32 v[18:19], v[8:9], v[66:67]
	v_fma_f64 v[14:15], v[159:160], v[80:81], v[14:15]
	v_add_f64_e64 v[147:148], v[32:33], -v[28:29]
	v_add_f64_e64 v[155:156], v[12:13], -v[26:27]
	v_add_f64_e32 v[161:162], v[12:13], v[26:27]
	v_mul_f64_e32 v[177:178], s[16:17], v[143:144]
	v_add_f64_e64 v[145:146], v[30:31], -v[16:17]
	v_fma_f64 v[18:19], v[10:11], v[64:65], v[18:19]
	v_mul_f64_e32 v[10:11], v[10:11], v[66:67]
	v_add_f64_e32 v[149:150], v[30:31], v[16:17]
	v_add_f64_e32 v[153:154], v[24:25], v[14:15]
	v_add_f64_e64 v[159:160], v[24:25], -v[14:15]
	v_mul_f64_e32 v[179:180], s[36:37], v[147:148]
	v_fma_f64 v[34:35], v[8:9], v[64:65], -v[10:11]
	s_delay_alu instid0(VALU_DEP_4) | instskip(NEXT) | instid1(VALU_DEP_4)
	v_mul_f64_e32 v[157:158], s[16:17], v[153:154]
	v_mul_f64_e32 v[163:164], s[36:37], v[159:160]
	;; [unrolled: 1-line block ×4, first 2 shown]
	s_wait_loadcnt 0x1
	v_mul_f64_e32 v[10:11], v[38:39], v[90:91]
	v_mul_f64_e32 v[8:9], v[36:37], v[90:91]
	s_delay_alu instid0(VALU_DEP_2) | instskip(SKIP_1) | instid1(VALU_DEP_3)
	v_fma_f64 v[10:11], v[36:37], v[88:89], -v[10:11]
	v_mul_f64_e32 v[36:37], v[20:21], v[62:63]
	v_fma_f64 v[8:9], v[38:39], v[88:89], v[8:9]
	s_delay_alu instid0(VALU_DEP_3) | instskip(NEXT) | instid1(VALU_DEP_3)
	v_add_f64_e64 v[137:138], v[34:35], -v[10:11]
	v_fma_f64 v[52:53], v[22:23], v[60:61], v[36:37]
	scratch_load_b128 v[36:39], off, off offset:64 th:TH_LOAD_LU ; 16-byte Folded Reload
	v_mul_f64_e32 v[22:23], v[22:23], v[62:63]
	v_add_f64_e32 v[135:136], v[18:19], v[8:9]
	v_add_f64_e64 v[139:140], v[18:19], -v[8:9]
	v_add_f64_e32 v[141:142], v[34:35], v[10:11]
	s_delay_alu instid0(VALU_DEP_4) | instskip(NEXT) | instid1(VALU_DEP_4)
	v_fma_f64 v[54:55], v[20:21], v[60:61], -v[22:23]
	v_mul_f64_e32 v[173:174], s[10:11], v[135:136]
	s_delay_alu instid0(VALU_DEP_4) | instskip(SKIP_3) | instid1(VALU_DEP_2)
	v_mul_f64_e32 v[175:176], s[34:35], v[139:140]
	s_wait_loadcnt 0x0
	v_mul_f64_e32 v[22:23], v[38:39], v[94:95]
	v_mul_f64_e32 v[20:21], v[36:37], v[94:95]
	v_fma_f64 v[22:23], v[36:37], v[92:93], -v[22:23]
	v_mul_f64_e32 v[36:37], v[4:5], v[58:59]
	s_delay_alu instid0(VALU_DEP_3) | instskip(NEXT) | instid1(VALU_DEP_3)
	v_fma_f64 v[20:21], v[38:39], v[92:93], v[20:21]
	v_add_f64_e64 v[129:130], v[54:55], -v[22:23]
	s_delay_alu instid0(VALU_DEP_3)
	v_fma_f64 v[40:41], v[6:7], v[56:57], v[36:37]
	scratch_load_b128 v[36:39], off, off offset:80 th:TH_LOAD_LU ; 16-byte Folded Reload
	v_mul_f64_e32 v[6:7], v[6:7], v[58:59]
	v_add_f64_e32 v[127:128], v[52:53], v[20:21]
	v_add_f64_e64 v[131:132], v[52:53], -v[20:21]
	v_add_f64_e32 v[133:134], v[54:55], v[22:23]
	s_delay_alu instid0(VALU_DEP_4) | instskip(NEXT) | instid1(VALU_DEP_4)
	v_fma_f64 v[42:43], v[4:5], v[56:57], -v[6:7]
	v_mul_f64_e32 v[169:170], s[4:5], v[127:128]
	s_delay_alu instid0(VALU_DEP_4) | instskip(SKIP_3) | instid1(VALU_DEP_2)
	v_mul_f64_e32 v[171:172], s[18:19], v[131:132]
	s_wait_loadcnt 0x0
	v_mul_f64_e32 v[6:7], v[38:39], v[98:99]
	v_mul_f64_e32 v[4:5], v[36:37], v[98:99]
	v_fma_f64 v[6:7], v[36:37], v[96:97], -v[6:7]
	v_mul_f64_e32 v[36:37], v[44:45], v[86:87]
	s_delay_alu instid0(VALU_DEP_3) | instskip(SKIP_1) | instid1(VALU_DEP_4)
	v_fma_f64 v[4:5], v[38:39], v[96:97], v[4:5]
	v_mul_f64_e32 v[38:39], v[46:47], v[86:87]
	v_add_f64_e32 v[125:126], v[42:43], v[6:7]
	s_delay_alu instid0(VALU_DEP_4) | instskip(NEXT) | instid1(VALU_DEP_4)
	v_fma_f64 v[36:37], v[46:47], v[84:85], v[36:37]
	v_add_f64_e32 v[114:115], v[40:41], v[4:5]
	s_delay_alu instid0(VALU_DEP_4) | instskip(SKIP_1) | instid1(VALU_DEP_4)
	v_fma_f64 v[38:39], v[44:45], v[84:85], -v[38:39]
	v_add_f64_e64 v[123:124], v[40:41], -v[4:5]
	v_add_f64_e32 v[44:45], v[100:101], v[36:37]
	s_delay_alu instid0(VALU_DEP_4) | instskip(NEXT) | instid1(VALU_DEP_4)
	v_mul_f64_e32 v[165:166], s[12:13], v[114:115]
	v_add_f64_e64 v[60:61], v[102:103], -v[38:39]
	v_add_f64_e32 v[84:85], v[102:103], v[38:39]
	v_mul_f64_e32 v[167:168], s[22:23], v[123:124]
	v_mul_f64_e32 v[185:186], s[4:5], v[114:115]
	;; [unrolled: 1-line block ×8, first 2 shown]
	v_fma_f64 v[62:63], v[60:61], s[40:41], v[46:47]
	v_fma_f64 v[64:65], v[60:61], s[18:19], v[46:47]
	;; [unrolled: 1-line block ×12, first 2 shown]
	v_add_f64_e64 v[44:45], v[100:101], -v[36:37]
	v_add_f64_e32 v[62:63], v[2:3], v[62:63]
	v_add_f64_e32 v[64:65], v[2:3], v[64:65]
	;; [unrolled: 1-line block ×7, first 2 shown]
	v_mul_f64_e32 v[46:47], s[18:19], v[44:45]
	v_mul_f64_e32 v[76:77], s[20:21], v[44:45]
	;; [unrolled: 1-line block ×6, first 2 shown]
	v_fma_f64 v[86:87], v[84:85], s[4:5], v[46:47]
	v_fma_f64 v[88:89], v[84:85], s[4:5], -v[46:47]
	v_fma_f64 v[90:91], v[84:85], s[10:11], v[76:77]
	v_fma_f64 v[76:77], v[84:85], s[10:11], -v[76:77]
	;; [unrolled: 2-line block ×6, first 2 shown]
	v_add_f64_e32 v[44:45], v[2:3], v[100:101]
	v_add_f64_e32 v[46:47], v[0:1], v[102:103]
	;; [unrolled: 1-line block ×5, first 2 shown]
	v_mul_f64_e32 v[68:69], s[10:11], v[127:128]
	v_add_f64_e32 v[86:87], v[0:1], v[86:87]
	v_add_f64_e32 v[88:89], v[0:1], v[88:89]
	;; [unrolled: 1-line block ×14, first 2 shown]
	v_add_f64_e64 v[0:1], v[42:43], -v[6:7]
	v_mul_f64_e32 v[60:61], s[30:31], v[114:115]
	v_fma_f64 v[70:71], v[129:130], s[34:35], v[68:69]
	s_delay_alu instid0(VALU_DEP_2) | instskip(SKIP_1) | instid1(VALU_DEP_2)
	v_fma_f64 v[56:57], v[0:1], s[28:29], v[60:61]
	v_fma_f64 v[60:61], v[0:1], s[44:45], v[60:61]
	v_add_f64_e32 v[56:57], v[56:57], v[62:63]
	v_mul_f64_e32 v[62:63], s[44:45], v[123:124]
	s_delay_alu instid0(VALU_DEP_3)
	v_add_f64_e32 v[60:61], v[60:61], v[64:65]
	v_fma_f64 v[64:65], v[129:130], s[20:21], v[68:69]
	v_fma_f64 v[68:69], v[161:162], s[16:17], -v[163:164]
	v_add_f64_e32 v[56:57], v[70:71], v[56:57]
	v_fma_f64 v[58:59], v[125:126], s[30:31], v[62:63]
	v_mul_f64_e32 v[70:71], s[20:21], v[131:132]
	v_fma_f64 v[62:63], v[125:126], s[30:31], -v[62:63]
	v_add_f64_e32 v[60:61], v[64:65], v[60:61]
	s_delay_alu instid0(VALU_DEP_4) | instskip(NEXT) | instid1(VALU_DEP_4)
	v_add_f64_e32 v[58:59], v[58:59], v[86:87]
	v_fma_f64 v[72:73], v[133:134], s[10:11], v[70:71]
	s_delay_alu instid0(VALU_DEP_4) | instskip(SKIP_2) | instid1(VALU_DEP_4)
	v_add_f64_e32 v[62:63], v[62:63], v[88:89]
	v_fma_f64 v[64:65], v[133:134], s[10:11], -v[70:71]
	v_mul_f64_e32 v[70:71], s[36:37], v[123:124]
	v_add_f64_e32 v[58:59], v[72:73], v[58:59]
	v_mul_f64_e32 v[72:73], s[14:15], v[135:136]
	s_delay_alu instid0(VALU_DEP_4) | instskip(NEXT) | instid1(VALU_DEP_2)
	v_add_f64_e32 v[62:63], v[64:65], v[62:63]
	v_fma_f64 v[74:75], v[137:138], s[26:27], v[72:73]
	v_fma_f64 v[64:65], v[137:138], s[42:43], v[72:73]
	v_mul_f64_e32 v[72:73], s[14:15], v[127:128]
	s_delay_alu instid0(VALU_DEP_3) | instskip(SKIP_1) | instid1(VALU_DEP_4)
	v_add_f64_e32 v[56:57], v[74:75], v[56:57]
	v_mul_f64_e32 v[74:75], s[42:43], v[139:140]
	v_add_f64_e32 v[60:61], v[64:65], v[60:61]
	s_delay_alu instid0(VALU_DEP_2) | instskip(SKIP_3) | instid1(VALU_DEP_4)
	v_fma_f64 v[84:85], v[141:142], s[14:15], v[74:75]
	v_fma_f64 v[64:65], v[141:142], s[14:15], -v[74:75]
	v_fma_f64 v[74:75], v[129:130], s[42:43], v[72:73]
	v_fma_f64 v[72:73], v[129:130], s[26:27], v[72:73]
	v_add_f64_e32 v[58:59], v[84:85], v[58:59]
	v_mul_f64_e32 v[84:85], s[12:13], v[143:144]
	v_add_f64_e32 v[62:63], v[64:65], v[62:63]
	s_delay_alu instid0(VALU_DEP_2) | instskip(SKIP_1) | instid1(VALU_DEP_2)
	v_fma_f64 v[86:87], v[145:146], s[38:39], v[84:85]
	v_fma_f64 v[64:65], v[145:146], s[22:23], v[84:85]
	v_add_f64_e32 v[56:57], v[86:87], v[56:57]
	v_mul_f64_e32 v[86:87], s[22:23], v[147:148]
	s_delay_alu instid0(VALU_DEP_3) | instskip(NEXT) | instid1(VALU_DEP_2)
	v_add_f64_e32 v[60:61], v[64:65], v[60:61]
	v_fma_f64 v[64:65], v[149:150], s[12:13], -v[86:87]
	v_fma_f64 v[151:152], v[149:150], s[12:13], v[86:87]
	s_delay_alu instid0(VALU_DEP_2) | instskip(SKIP_1) | instid1(VALU_DEP_3)
	v_add_f64_e32 v[64:65], v[64:65], v[62:63]
	v_fma_f64 v[62:63], v[155:156], s[36:37], v[157:158]
	v_add_f64_e32 v[151:152], v[151:152], v[58:59]
	v_fma_f64 v[58:59], v[155:156], s[24:25], v[157:158]
	v_mul_f64_e32 v[157:158], s[12:13], v[153:154]
	s_delay_alu instid0(VALU_DEP_4)
	v_add_f64_e32 v[62:63], v[62:63], v[60:61]
	v_add_f64_e32 v[60:61], v[68:69], v[64:65]
	v_mul_f64_e32 v[68:69], s[16:17], v[114:115]
	v_add_f64_e32 v[58:59], v[58:59], v[56:57]
	v_fma_f64 v[56:57], v[161:162], s[16:17], v[163:164]
	v_mul_f64_e32 v[163:164], s[22:23], v[159:160]
	s_delay_alu instid0(VALU_DEP_4) | instskip(SKIP_1) | instid1(VALU_DEP_4)
	v_fma_f64 v[64:65], v[0:1], s[24:25], v[68:69]
	v_fma_f64 v[68:69], v[0:1], s[36:37], v[68:69]
	v_add_f64_e32 v[56:57], v[56:57], v[151:152]
	s_delay_alu instid0(VALU_DEP_3) | instskip(SKIP_1) | instid1(VALU_DEP_4)
	v_add_f64_e32 v[64:65], v[64:65], v[66:67]
	v_fma_f64 v[66:67], v[125:126], s[16:17], v[70:71]
	v_add_f64_e32 v[68:69], v[68:69], v[100:101]
	v_fma_f64 v[70:71], v[125:126], s[16:17], -v[70:71]
	v_mul_f64_e32 v[100:101], s[24:25], v[139:140]
	v_add_f64_e32 v[64:65], v[74:75], v[64:65]
	v_mul_f64_e32 v[74:75], s[26:27], v[131:132]
	v_add_f64_e32 v[66:67], v[66:67], v[90:91]
	v_add_f64_e32 v[70:71], v[70:71], v[76:77]
	;; [unrolled: 1-line block ×3, first 2 shown]
	s_delay_alu instid0(VALU_DEP_4) | instskip(SKIP_2) | instid1(VALU_DEP_3)
	v_fma_f64 v[84:85], v[133:134], s[14:15], v[74:75]
	v_fma_f64 v[72:73], v[133:134], s[14:15], -v[74:75]
	v_fma_f64 v[74:75], v[161:162], s[12:13], -v[163:164]
	v_add_f64_e32 v[66:67], v[84:85], v[66:67]
	v_mul_f64_e32 v[84:85], s[4:5], v[135:136]
	s_delay_alu instid0(VALU_DEP_4) | instskip(NEXT) | instid1(VALU_DEP_2)
	v_add_f64_e32 v[70:71], v[72:73], v[70:71]
	v_fma_f64 v[86:87], v[137:138], s[18:19], v[84:85]
	v_fma_f64 v[72:73], v[137:138], s[40:41], v[84:85]
	v_mul_f64_e32 v[84:85], s[10:11], v[114:115]
	s_delay_alu instid0(VALU_DEP_3) | instskip(SKIP_1) | instid1(VALU_DEP_4)
	v_add_f64_e32 v[64:65], v[86:87], v[64:65]
	v_mul_f64_e32 v[86:87], s[40:41], v[139:140]
	v_add_f64_e32 v[68:69], v[72:73], v[68:69]
	s_delay_alu instid0(VALU_DEP_2) | instskip(SKIP_2) | instid1(VALU_DEP_3)
	v_fma_f64 v[88:89], v[141:142], s[4:5], v[86:87]
	v_fma_f64 v[72:73], v[141:142], s[4:5], -v[86:87]
	v_mul_f64_e32 v[86:87], s[34:35], v[123:124]
	v_add_f64_e32 v[66:67], v[88:89], v[66:67]
	v_mul_f64_e32 v[88:89], s[30:31], v[143:144]
	s_delay_alu instid0(VALU_DEP_4) | instskip(NEXT) | instid1(VALU_DEP_2)
	v_add_f64_e32 v[70:71], v[72:73], v[70:71]
	v_fma_f64 v[90:91], v[145:146], s[28:29], v[88:89]
	v_fma_f64 v[72:73], v[145:146], s[44:45], v[88:89]
	v_mul_f64_e32 v[88:89], s[30:31], v[127:128]
	s_delay_alu instid0(VALU_DEP_3) | instskip(SKIP_1) | instid1(VALU_DEP_4)
	v_add_f64_e32 v[64:65], v[90:91], v[64:65]
	v_mul_f64_e32 v[90:91], s[44:45], v[147:148]
	v_add_f64_e32 v[68:69], v[72:73], v[68:69]
	s_delay_alu instid0(VALU_DEP_4) | instskip(SKIP_1) | instid1(VALU_DEP_4)
	v_fma_f64 v[76:77], v[129:130], s[28:29], v[88:89]
	v_fma_f64 v[88:89], v[129:130], s[44:45], v[88:89]
	v_fma_f64 v[72:73], v[149:150], s[30:31], -v[90:91]
	v_fma_f64 v[151:152], v[149:150], s[30:31], v[90:91]
	v_mul_f64_e32 v[90:91], s[44:45], v[131:132]
	s_delay_alu instid0(VALU_DEP_3) | instskip(SKIP_1) | instid1(VALU_DEP_4)
	v_add_f64_e32 v[72:73], v[72:73], v[70:71]
	v_fma_f64 v[70:71], v[155:156], s[22:23], v[157:158]
	v_add_f64_e32 v[151:152], v[151:152], v[66:67]
	v_fma_f64 v[66:67], v[155:156], s[38:39], v[157:158]
	v_mul_f64_e32 v[157:158], s[14:15], v[153:154]
	s_delay_alu instid0(VALU_DEP_4)
	v_add_f64_e32 v[70:71], v[70:71], v[68:69]
	v_add_f64_e32 v[68:69], v[74:75], v[72:73]
	v_fma_f64 v[72:73], v[0:1], s[20:21], v[84:85]
	v_fma_f64 v[74:75], v[125:126], s[10:11], v[86:87]
	v_add_f64_e32 v[66:67], v[66:67], v[64:65]
	v_fma_f64 v[64:65], v[161:162], s[12:13], v[163:164]
	v_mul_f64_e32 v[163:164], s[42:43], v[159:160]
	v_fma_f64 v[84:85], v[0:1], s[34:35], v[84:85]
	v_fma_f64 v[86:87], v[125:126], s[10:11], -v[86:87]
	v_add_f64_e32 v[72:73], v[72:73], v[102:103]
	v_add_f64_e32 v[74:75], v[74:75], v[92:93]
	v_mul_f64_e32 v[92:93], s[16:17], v[135:136]
	v_mul_f64_e32 v[102:103], s[4:5], v[143:144]
	v_add_f64_e32 v[64:65], v[64:65], v[151:152]
	v_mul_f64_e32 v[151:152], s[40:41], v[147:148]
	v_add_f64_e32 v[84:85], v[84:85], v[104:105]
	v_add_f64_e32 v[86:87], v[86:87], v[106:107]
	v_mul_f64_e32 v[104:105], s[16:17], v[127:128]
	v_mul_f64_e32 v[106:107], s[24:25], v[131:132]
	v_add_f64_e32 v[72:73], v[76:77], v[72:73]
	v_fma_f64 v[76:77], v[133:134], s[30:31], v[90:91]
	v_add_f64_e32 v[84:85], v[88:89], v[84:85]
	v_fma_f64 v[88:89], v[133:134], s[30:31], -v[90:91]
	v_fma_f64 v[90:91], v[161:162], s[14:15], -v[163:164]
	s_delay_alu instid0(VALU_DEP_4) | instskip(SKIP_1) | instid1(VALU_DEP_4)
	v_add_f64_e32 v[74:75], v[76:77], v[74:75]
	v_fma_f64 v[76:77], v[137:138], s[36:37], v[92:93]
	v_add_f64_e32 v[86:87], v[88:89], v[86:87]
	v_fma_f64 v[88:89], v[137:138], s[24:25], v[92:93]
	s_delay_alu instid0(VALU_DEP_3) | instskip(SKIP_1) | instid1(VALU_DEP_3)
	v_add_f64_e32 v[72:73], v[76:77], v[72:73]
	v_fma_f64 v[76:77], v[141:142], s[16:17], v[100:101]
	v_add_f64_e32 v[84:85], v[88:89], v[84:85]
	v_fma_f64 v[88:89], v[141:142], s[16:17], -v[100:101]
	v_fma_f64 v[100:101], v[161:162], s[30:31], v[183:184]
	s_delay_alu instid0(VALU_DEP_4) | instskip(SKIP_1) | instid1(VALU_DEP_4)
	v_add_f64_e32 v[74:75], v[76:77], v[74:75]
	v_fma_f64 v[76:77], v[145:146], s[18:19], v[102:103]
	v_add_f64_e32 v[86:87], v[88:89], v[86:87]
	v_fma_f64 v[88:89], v[145:146], s[40:41], v[102:103]
	v_mul_f64_e32 v[102:103], s[26:27], v[123:124]
	s_delay_alu instid0(VALU_DEP_4) | instskip(SKIP_1) | instid1(VALU_DEP_4)
	v_add_f64_e32 v[72:73], v[76:77], v[72:73]
	v_fma_f64 v[76:77], v[149:150], s[4:5], v[151:152]
	v_add_f64_e32 v[84:85], v[88:89], v[84:85]
	v_fma_f64 v[88:89], v[149:150], s[4:5], -v[151:152]
	s_delay_alu instid0(VALU_DEP_3) | instskip(SKIP_1) | instid1(VALU_DEP_3)
	v_add_f64_e32 v[76:77], v[76:77], v[74:75]
	v_fma_f64 v[74:75], v[155:156], s[26:27], v[157:158]
	v_add_f64_e32 v[88:89], v[88:89], v[86:87]
	v_fma_f64 v[86:87], v[155:156], s[42:43], v[157:158]
	s_delay_alu instid0(VALU_DEP_3) | instskip(SKIP_1) | instid1(VALU_DEP_3)
	v_add_f64_e32 v[74:75], v[74:75], v[72:73]
	v_fma_f64 v[72:73], v[161:162], s[14:15], v[163:164]
	v_add_f64_e32 v[86:87], v[86:87], v[84:85]
	v_add_f64_e32 v[84:85], v[90:91], v[88:89]
	v_fma_f64 v[88:89], v[0:1], s[40:41], v[185:186]
	s_delay_alu instid0(VALU_DEP_4) | instskip(SKIP_1) | instid1(VALU_DEP_3)
	v_add_f64_e32 v[72:73], v[72:73], v[76:77]
	v_fma_f64 v[76:77], v[0:1], s[22:23], v[165:166]
	v_add_f64_e32 v[88:89], v[88:89], v[108:109]
	v_mul_f64_e32 v[108:109], s[12:13], v[135:136]
	s_delay_alu instid0(VALU_DEP_3) | instskip(SKIP_1) | instid1(VALU_DEP_1)
	v_add_f64_e32 v[76:77], v[76:77], v[78:79]
	v_fma_f64 v[78:79], v[125:126], s[12:13], -v[167:168]
	v_add_f64_e32 v[78:79], v[78:79], v[82:83]
	v_fma_f64 v[82:83], v[129:130], s[18:19], v[169:170]
	s_delay_alu instid0(VALU_DEP_1) | instskip(SKIP_1) | instid1(VALU_DEP_1)
	v_add_f64_e32 v[76:77], v[82:83], v[76:77]
	v_fma_f64 v[82:83], v[133:134], s[4:5], -v[171:172]
	v_add_f64_e32 v[78:79], v[82:83], v[78:79]
	v_fma_f64 v[82:83], v[137:138], s[34:35], v[173:174]
	s_delay_alu instid0(VALU_DEP_1) | instskip(SKIP_1) | instid1(VALU_DEP_1)
	v_add_f64_e32 v[76:77], v[82:83], v[76:77]
	v_fma_f64 v[82:83], v[141:142], s[10:11], -v[175:176]
	v_add_f64_e32 v[78:79], v[82:83], v[78:79]
	v_fma_f64 v[82:83], v[145:146], s[36:37], v[177:178]
	s_delay_alu instid0(VALU_DEP_1) | instskip(SKIP_1) | instid1(VALU_DEP_1)
	v_add_f64_e32 v[76:77], v[82:83], v[76:77]
	v_fma_f64 v[82:83], v[149:150], s[16:17], -v[179:180]
	v_add_f64_e32 v[82:83], v[82:83], v[78:79]
	v_fma_f64 v[78:79], v[155:156], s[44:45], v[181:182]
	s_delay_alu instid0(VALU_DEP_1) | instskip(SKIP_1) | instid1(VALU_DEP_1)
	v_add_f64_e32 v[78:79], v[78:79], v[76:77]
	v_fma_f64 v[76:77], v[161:162], s[30:31], -v[183:184]
	v_add_f64_e32 v[76:77], v[76:77], v[82:83]
	v_fma_f64 v[82:83], v[0:1], s[18:19], v[185:186]
	s_delay_alu instid0(VALU_DEP_1) | instskip(SKIP_2) | instid1(VALU_DEP_2)
	v_add_f64_e32 v[82:83], v[82:83], v[110:111]
	v_mul_f64_e32 v[110:111], s[18:19], v[123:124]
	v_mul_f64_e32 v[123:124], s[4:5], v[153:154]
	v_fma_f64 v[187:188], v[125:126], s[4:5], -v[110:111]
	v_fma_f64 v[90:91], v[125:126], s[4:5], v[110:111]
	v_mul_f64_e32 v[110:111], s[22:23], v[139:140]
	s_delay_alu instid0(VALU_DEP_3) | instskip(SKIP_1) | instid1(VALU_DEP_4)
	v_add_f64_e32 v[80:81], v[187:188], v[80:81]
	v_mul_f64_e32 v[187:188], s[12:13], v[127:128]
	v_add_f64_e32 v[90:91], v[90:91], v[94:95]
	v_mul_f64_e32 v[127:128], s[18:19], v[159:160]
	s_delay_alu instid0(VALU_DEP_3) | instskip(SKIP_1) | instid1(VALU_DEP_2)
	v_fma_f64 v[189:190], v[129:130], s[38:39], v[187:188]
	v_fma_f64 v[92:93], v[129:130], s[22:23], v[187:188]
	v_add_f64_e32 v[82:83], v[189:190], v[82:83]
	v_mul_f64_e32 v[189:190], s[38:39], v[131:132]
	s_delay_alu instid0(VALU_DEP_3) | instskip(NEXT) | instid1(VALU_DEP_2)
	v_add_f64_e32 v[88:89], v[92:93], v[88:89]
	v_fma_f64 v[191:192], v[133:134], s[12:13], -v[189:190]
	v_fma_f64 v[92:93], v[133:134], s[12:13], v[189:190]
	s_delay_alu instid0(VALU_DEP_2) | instskip(SKIP_1) | instid1(VALU_DEP_3)
	v_add_f64_e32 v[80:81], v[191:192], v[80:81]
	v_mul_f64_e32 v[191:192], s[30:31], v[135:136]
	v_add_f64_e32 v[90:91], v[92:93], v[90:91]
	s_delay_alu instid0(VALU_DEP_2) | instskip(SKIP_1) | instid1(VALU_DEP_2)
	v_fma_f64 v[193:194], v[137:138], s[44:45], v[191:192]
	v_fma_f64 v[92:93], v[137:138], s[28:29], v[191:192]
	v_add_f64_e32 v[82:83], v[193:194], v[82:83]
	v_mul_f64_e32 v[193:194], s[44:45], v[139:140]
	s_delay_alu instid0(VALU_DEP_3) | instskip(NEXT) | instid1(VALU_DEP_2)
	v_add_f64_e32 v[88:89], v[92:93], v[88:89]
	v_fma_f64 v[195:196], v[141:142], s[30:31], -v[193:194]
	v_fma_f64 v[92:93], v[141:142], s[30:31], v[193:194]
	s_delay_alu instid0(VALU_DEP_2) | instskip(SKIP_1) | instid1(VALU_DEP_3)
	v_add_f64_e32 v[80:81], v[195:196], v[80:81]
	v_mul_f64_e32 v[195:196], s[14:15], v[143:144]
	v_add_f64_e32 v[90:91], v[92:93], v[90:91]
	s_delay_alu instid0(VALU_DEP_2) | instskip(SKIP_1) | instid1(VALU_DEP_2)
	;; [unrolled: 13-line block ×3, first 2 shown]
	v_fma_f64 v[201:202], v[155:156], s[20:21], v[199:200]
	v_fma_f64 v[90:91], v[155:156], s[34:35], v[199:200]
	v_add_f64_e32 v[82:83], v[201:202], v[82:83]
	v_mul_f64_e32 v[201:202], s[20:21], v[159:160]
	s_delay_alu instid0(VALU_DEP_3) | instskip(NEXT) | instid1(VALU_DEP_2)
	v_add_f64_e32 v[90:91], v[90:91], v[88:89]
	v_fma_f64 v[94:95], v[161:162], s[10:11], v[201:202]
	v_fma_f64 v[203:204], v[161:162], s[10:11], -v[201:202]
	s_delay_alu instid0(VALU_DEP_2) | instskip(SKIP_2) | instid1(VALU_DEP_4)
	v_add_f64_e32 v[88:89], v[94:95], v[92:93]
	v_fma_f64 v[92:93], v[0:1], s[38:39], v[165:166]
	v_fma_f64 v[94:95], v[125:126], s[12:13], v[167:168]
	v_add_f64_e32 v[80:81], v[203:204], v[80:81]
	s_delay_alu instid0(VALU_DEP_3) | instskip(NEXT) | instid1(VALU_DEP_3)
	v_add_f64_e32 v[92:93], v[92:93], v[112:113]
	v_add_f64_e32 v[94:95], v[94:95], v[96:97]
	v_fma_f64 v[96:97], v[129:130], s[40:41], v[169:170]
	v_mul_f64_e32 v[112:113], s[10:11], v[143:144]
	s_delay_alu instid0(VALU_DEP_2) | instskip(SKIP_1) | instid1(VALU_DEP_1)
	v_add_f64_e32 v[92:93], v[96:97], v[92:93]
	v_fma_f64 v[96:97], v[133:134], s[4:5], v[171:172]
	v_add_f64_e32 v[94:95], v[96:97], v[94:95]
	v_fma_f64 v[96:97], v[137:138], s[20:21], v[173:174]
	s_delay_alu instid0(VALU_DEP_1) | instskip(SKIP_1) | instid1(VALU_DEP_1)
	v_add_f64_e32 v[92:93], v[96:97], v[92:93]
	v_fma_f64 v[96:97], v[141:142], s[10:11], v[175:176]
	v_add_f64_e32 v[94:95], v[96:97], v[94:95]
	v_fma_f64 v[96:97], v[145:146], s[24:25], v[177:178]
	s_delay_alu instid0(VALU_DEP_1) | instskip(SKIP_1) | instid1(VALU_DEP_1)
	v_add_f64_e32 v[92:93], v[96:97], v[92:93]
	v_fma_f64 v[96:97], v[149:150], s[16:17], v[179:180]
	v_add_f64_e32 v[96:97], v[96:97], v[94:95]
	v_fma_f64 v[94:95], v[155:156], s[28:29], v[181:182]
	s_delay_alu instid0(VALU_DEP_1) | instskip(NEXT) | instid1(VALU_DEP_3)
	v_add_f64_e32 v[94:95], v[94:95], v[92:93]
	v_add_f64_e32 v[92:93], v[100:101], v[96:97]
	v_mul_f64_e32 v[100:101], s[14:15], v[114:115]
	v_mul_f64_e32 v[114:115], s[20:21], v[147:148]
	s_delay_alu instid0(VALU_DEP_2) | instskip(SKIP_1) | instid1(VALU_DEP_2)
	v_fma_f64 v[96:97], v[0:1], s[26:27], v[100:101]
	v_fma_f64 v[0:1], v[0:1], s[42:43], v[100:101]
	v_add_f64_e32 v[2:3], v[96:97], v[2:3]
	v_fma_f64 v[96:97], v[125:126], s[14:15], -v[102:103]
	s_delay_alu instid0(VALU_DEP_3) | instskip(NEXT) | instid1(VALU_DEP_2)
	v_add_f64_e32 v[0:1], v[0:1], v[48:49]
	v_add_f64_e32 v[96:97], v[96:97], v[98:99]
	v_fma_f64 v[98:99], v[129:130], s[24:25], v[104:105]
	s_delay_alu instid0(VALU_DEP_1) | instskip(SKIP_1) | instid1(VALU_DEP_1)
	v_add_f64_e32 v[2:3], v[98:99], v[2:3]
	v_fma_f64 v[98:99], v[133:134], s[16:17], -v[106:107]
	v_add_f64_e32 v[96:97], v[98:99], v[96:97]
	v_fma_f64 v[98:99], v[137:138], s[22:23], v[108:109]
	s_delay_alu instid0(VALU_DEP_1) | instskip(SKIP_1) | instid1(VALU_DEP_1)
	v_add_f64_e32 v[2:3], v[98:99], v[2:3]
	v_fma_f64 v[98:99], v[141:142], s[12:13], -v[110:111]
	;; [unrolled: 5-line block ×4, first 2 shown]
	v_add_f64_e32 v[96:97], v[2:3], v[96:97]
	v_add_f64_e32 v[2:3], v[44:45], v[40:41]
	;; [unrolled: 1-line block ×3, first 2 shown]
	s_delay_alu instid0(VALU_DEP_2) | instskip(NEXT) | instid1(VALU_DEP_2)
	v_add_f64_e32 v[2:3], v[2:3], v[52:53]
	v_add_f64_e32 v[40:41], v[40:41], v[54:55]
	s_delay_alu instid0(VALU_DEP_2) | instskip(NEXT) | instid1(VALU_DEP_2)
	v_add_f64_e32 v[2:3], v[2:3], v[18:19]
	v_add_f64_e32 v[18:19], v[40:41], v[34:35]
	s_delay_alu instid0(VALU_DEP_2) | instskip(NEXT) | instid1(VALU_DEP_2)
	v_add_f64_e32 v[2:3], v[2:3], v[32:33]
	v_add_f64_e32 v[18:19], v[18:19], v[30:31]
	s_delay_alu instid0(VALU_DEP_2) | instskip(NEXT) | instid1(VALU_DEP_2)
	v_add_f64_e32 v[2:3], v[2:3], v[24:25]
	v_add_f64_e32 v[12:13], v[18:19], v[12:13]
	s_delay_alu instid0(VALU_DEP_2) | instskip(NEXT) | instid1(VALU_DEP_2)
	v_add_f64_e32 v[2:3], v[2:3], v[14:15]
	v_add_f64_e32 v[12:13], v[12:13], v[26:27]
	v_fma_f64 v[14:15], v[141:142], s[12:13], v[110:111]
	s_delay_alu instid0(VALU_DEP_3) | instskip(NEXT) | instid1(VALU_DEP_3)
	v_add_f64_e32 v[2:3], v[2:3], v[28:29]
	v_add_f64_e32 v[12:13], v[12:13], v[16:17]
	s_delay_alu instid0(VALU_DEP_2) | instskip(NEXT) | instid1(VALU_DEP_2)
	v_add_f64_e32 v[2:3], v[2:3], v[8:9]
	v_add_f64_e32 v[8:9], v[12:13], v[10:11]
	v_fma_f64 v[10:11], v[133:134], s[16:17], v[106:107]
	v_fma_f64 v[12:13], v[137:138], s[38:39], v[108:109]
	s_delay_alu instid0(VALU_DEP_4) | instskip(NEXT) | instid1(VALU_DEP_4)
	v_add_f64_e32 v[2:3], v[2:3], v[20:21]
	v_add_f64_e32 v[8:9], v[8:9], v[22:23]
	s_delay_alu instid0(VALU_DEP_2) | instskip(NEXT) | instid1(VALU_DEP_2)
	v_add_f64_e32 v[2:3], v[2:3], v[4:5]
	v_add_f64_e32 v[6:7], v[8:9], v[6:7]
	v_fma_f64 v[8:9], v[129:130], s[36:37], v[104:105]
	s_delay_alu instid0(VALU_DEP_3) | instskip(NEXT) | instid1(VALU_DEP_3)
	v_add_f64_e32 v[4:5], v[2:3], v[36:37]
	v_add_f64_e32 v[2:3], v[6:7], v[38:39]
	v_fma_f64 v[6:7], v[125:126], s[14:15], v[102:103]
	s_delay_alu instid0(VALU_DEP_4) | instskip(SKIP_1) | instid1(VALU_DEP_3)
	v_add_f64_e32 v[0:1], v[8:9], v[0:1]
	v_fma_f64 v[8:9], v[145:146], s[34:35], v[112:113]
	v_add_f64_e32 v[6:7], v[6:7], v[50:51]
	s_delay_alu instid0(VALU_DEP_3) | instskip(SKIP_1) | instid1(VALU_DEP_3)
	v_add_f64_e32 v[0:1], v[12:13], v[0:1]
	v_fma_f64 v[12:13], v[155:156], s[40:41], v[123:124]
	v_add_f64_e32 v[6:7], v[10:11], v[6:7]
	v_fma_f64 v[10:11], v[149:150], s[10:11], v[114:115]
	s_delay_alu instid0(VALU_DEP_4) | instskip(NEXT) | instid1(VALU_DEP_3)
	v_add_f64_e32 v[0:1], v[8:9], v[0:1]
	v_add_f64_e32 v[6:7], v[14:15], v[6:7]
	v_fma_f64 v[14:15], v[161:162], s[4:5], v[127:128]
	s_delay_alu instid0(VALU_DEP_3) | instskip(SKIP_1) | instid1(VALU_DEP_1)
	v_add_f64_e32 v[8:9], v[12:13], v[0:1]
	v_add_nc_u32_e32 v0, 52, v118
	v_lshrrev_b32_e32 v0, 2, v0
	s_delay_alu instid0(VALU_DEP_1) | instskip(NEXT) | instid1(VALU_DEP_1)
	v_mul_u32_u24_e32 v0, 52, v0
	v_or_b32_e32 v0, v0, v119
	s_delay_alu instid0(VALU_DEP_1) | instskip(SKIP_1) | instid1(VALU_DEP_1)
	v_lshl_add_u32 v0, v0, 4, 0
	v_add_f64_e32 v[6:7], v[10:11], v[6:7]
	v_add_f64_e32 v[6:7], v[14:15], v[6:7]
	ds_store_b128 v0, v[76:79] offset:128
	ds_store_b128 v0, v[80:83] offset:192
	;; [unrolled: 1-line block ×11, first 2 shown]
	ds_store_b128 v0, v[2:5]
	ds_store_b128 v0, v[6:9] offset:768
.LBB0_31:
	s_wait_alu 0xfffe
	s_or_b32 exec_lo, exec_lo, s1
	v_add_nc_u32_e32 v2, 0x68, v118
	v_mul_u32_u24_e32 v1, 6, v118
	global_wb scope:SCOPE_SE
	s_wait_dscnt 0x0
	s_barrier_signal -1
	s_barrier_wait -1
	v_and_b32_e32 v0, 0xff, v2
	v_lshlrev_b32_e32 v1, 4, v1
	global_inv scope:SCOPE_SE
	s_mov_b32 s10, 0x37e14327
	s_mov_b32 s0, 0x36b3c0b5
	v_mul_lo_u16 v0, 0x4f, v0
	s_clause 0x3
	global_load_b128 v[28:31], v1, s[8:9] offset:800
	global_load_b128 v[34:37], v1, s[8:9] offset:816
	;; [unrolled: 1-line block ×4, first 2 shown]
	s_mov_b32 s14, 0xe976ee23
	s_mov_b32 s11, 0x3fe948f6
	v_lshrrev_b16 v0, 12, v0
	s_mov_b32 s1, 0x3fac98ee
	s_mov_b32 s15, 0xbfe11646
	s_mov_b32 s4, 0x429ad128
	s_mov_b32 s5, 0x3febfeb5
	v_mul_lo_u16 v0, v0, 52
	s_mov_b32 s12, 0xaaaaaaaa
	s_mov_b32 s16, 0x5476071b
	s_mov_b32 s22, 0xb247c609
	s_mov_b32 s13, 0xbff2aaaa
	v_sub_nc_u16 v0, v2, v0
	s_mov_b32 s17, 0x3fe77f67
	s_mov_b32 s21, 0xbfe77f67
	;; [unrolled: 1-line block ×3, first 2 shown]
	s_wait_alu 0xfffe
	s_mov_b32 s20, s16
	v_and_b32_e32 v104, 0xff, v0
	s_mov_b32 s25, 0xbfd5d0dc
	s_mov_b32 s24, s22
	;; [unrolled: 1-line block ×4, first 2 shown]
	v_mul_u32_u24_e32 v0, 6, v104
	s_delay_alu instid0(VALU_DEP_1)
	v_lshlrev_b32_e32 v0, 4, v0
	s_clause 0x7
	global_load_b128 v[56:59], v1, s[8:9] offset:832
	global_load_b128 v[60:63], v1, s[8:9] offset:848
	;; [unrolled: 1-line block ×8, first 2 shown]
	ds_load_b128 v[72:75], v215 offset:2496
	ds_load_b128 v[84:87], v215 offset:12480
	ds_load_b128 v[8:11], v215
	ds_load_b128 v[4:7], v215 offset:832
	ds_load_b128 v[76:79], v215 offset:4992
	ds_load_b128 v[88:91], v215 offset:5824
	ds_load_b128 v[92:95], v215 offset:9984
	ds_load_b128 v[105:108], v215 offset:10816
	ds_load_b128 v[96:99], v215 offset:14976
	ds_load_b128 v[109:112], v215 offset:15808
	ds_load_b128 v[0:3], v215 offset:1664
	ds_load_b128 v[135:138], v215 offset:3328
	ds_load_b128 v[139:142], v215 offset:4160
	ds_load_b128 v[143:146], v215 offset:7488
	ds_load_b128 v[147:150], v215 offset:6656
	ds_load_b128 v[151:154], v215 offset:8320
	ds_load_b128 v[24:27], v215 offset:9152
	ds_load_b128 v[20:23], v215 offset:11648
	ds_load_b128 v[155:158], v215 offset:13312
	ds_load_b128 v[159:162], v215 offset:14144
	ds_load_b128 v[163:166], v215 offset:16640
	s_wait_loadcnt_dscnt 0xb14
	v_mul_f64_e32 v[46:47], v[72:73], v[30:31]
	v_mul_f64_e32 v[32:33], v[74:75], v[30:31]
	s_wait_loadcnt_dscnt 0x813
	v_mul_f64_e32 v[113:114], v[86:87], v[44:45]
	v_mul_f64_e32 v[123:124], v[84:85], v[44:45]
	s_wait_dscnt 0x2
	v_mul_f64_e32 v[131:132], v[157:158], v[44:45]
	v_mul_f64_e32 v[133:134], v[155:156], v[44:45]
	;; [unrolled: 1-line block ×12, first 2 shown]
	s_wait_loadcnt 0x7
	v_mul_f64_e32 v[167:168], v[145:146], v[58:59]
	v_mul_f64_e32 v[169:170], v[143:144], v[58:59]
	;; [unrolled: 1-line block ×3, first 2 shown]
	s_wait_loadcnt 0x4
	v_mul_f64_e32 v[177:178], v[149:150], v[54:55]
	v_mul_f64_e32 v[54:55], v[147:148], v[54:55]
	s_wait_loadcnt_dscnt 0x300
	v_mul_f64_e32 v[179:180], v[165:166], v[66:67]
	v_mul_f64_e32 v[66:67], v[163:164], v[66:67]
	;; [unrolled: 1-line block ×7, first 2 shown]
	v_fma_f64 v[74:75], v[74:75], v[28:29], v[46:47]
	s_wait_loadcnt 0x2
	v_mul_f64_e32 v[181:182], v[161:162], v[70:71]
	v_fma_f64 v[84:85], v[84:85], v[42:43], -v[113:114]
	v_fma_f64 v[86:87], v[86:87], v[42:43], v[123:124]
	v_fma_f64 v[44:45], v[155:156], v[42:43], -v[131:132]
	v_fma_f64 v[46:47], v[157:158], v[42:43], v[133:134]
	;; [unrolled: 2-line block ×4, first 2 shown]
	s_wait_loadcnt 0x1
	v_mul_f64_e32 v[96:97], v[26:27], v[18:19]
	v_mul_f64_e32 v[98:99], v[24:25], v[18:19]
	v_fma_f64 v[18:19], v[137:138], v[28:29], v[30:31]
	v_fma_f64 v[30:31], v[111:112], v[38:39], v[40:41]
	v_mul_f64_e32 v[70:71], v[159:160], v[70:71]
	v_fma_f64 v[72:73], v[72:73], v[28:29], -v[32:33]
	v_fma_f64 v[32:33], v[88:89], v[34:35], -v[127:128]
	v_fma_f64 v[34:35], v[90:91], v[34:35], v[36:37]
	v_mul_f64_e32 v[185:186], v[107:108], v[62:63]
	v_mul_f64_e32 v[62:63], v[105:106], v[62:63]
	s_wait_loadcnt 0x0
	v_mul_f64_e32 v[100:101], v[22:23], v[14:15]
	v_mul_f64_e32 v[102:103], v[20:21], v[14:15]
	v_fma_f64 v[14:15], v[135:136], v[28:29], -v[125:126]
	v_fma_f64 v[28:29], v[109:110], v[38:39], -v[129:130]
	v_mov_b32_e32 v123, 0
	v_fma_f64 v[88:89], v[143:144], v[56:57], -v[167:168]
	v_fma_f64 v[90:91], v[145:146], v[56:57], v[169:170]
	scratch_load_b64 v[144:145], off, off th:TH_LOAD_LU ; 8-byte Folded Reload
	v_fma_f64 v[40:41], v[147:148], v[52:53], -v[177:178]
	v_fma_f64 v[42:43], v[149:150], v[52:53], v[54:55]
	v_fma_f64 v[52:53], v[163:164], v[64:65], -v[179:180]
	v_fma_f64 v[54:55], v[165:166], v[64:65], v[66:67]
	v_fma_f64 v[66:67], v[153:154], v[56:57], v[58:59]
	scratch_load_b64 v[154:155], off, off offset:40 th:TH_LOAD_LU ; 8-byte Folded Reload
	v_fma_f64 v[64:65], v[151:152], v[56:57], -v[183:184]
	s_clause 0x3
	scratch_load_b64 v[152:153], off, off offset:32 th:TH_LOAD_LU
	scratch_load_b64 v[150:151], off, off offset:24 th:TH_LOAD_LU
	;; [unrolled: 1-line block ×4, first 2 shown]
	v_fma_f64 v[92:93], v[92:93], v[60:61], -v[171:172]
	v_fma_f64 v[94:95], v[94:95], v[60:61], v[173:174]
	v_fma_f64 v[36:37], v[139:140], v[48:49], -v[175:176]
	v_fma_f64 v[38:39], v[141:142], v[48:49], v[50:51]
	v_fma_f64 v[48:49], v[159:160], v[68:69], -v[181:182]
	s_wait_loadcnt 0x4
	v_mov_b32_e32 v155, v123
	s_wait_loadcnt 0x3
	v_mov_b32_e32 v153, v123
	v_add_f64_e32 v[58:59], v[74:75], v[78:79]
	v_fma_f64 v[24:25], v[24:25], v[16:17], -v[96:97]
	v_fma_f64 v[16:17], v[26:27], v[16:17], v[98:99]
	v_add_f64_e64 v[74:75], v[74:75], -v[78:79]
	v_add_f64_e32 v[26:27], v[18:19], v[30:31]
	v_fma_f64 v[50:51], v[161:162], v[68:69], v[70:71]
	v_add_f64_e32 v[56:57], v[72:73], v[76:77]
	v_add_f64_e32 v[96:97], v[32:33], v[44:45]
	;; [unrolled: 1-line block ×3, first 2 shown]
	v_fma_f64 v[68:69], v[105:106], v[60:61], -v[185:186]
	v_fma_f64 v[70:71], v[107:108], v[60:61], v[62:63]
	v_add_f64_e32 v[60:61], v[80:81], v[84:85]
	v_add_f64_e32 v[62:63], v[82:83], v[86:87]
	v_fma_f64 v[20:21], v[20:21], v[12:13], -v[100:101]
	v_fma_f64 v[12:13], v[22:23], v[12:13], v[102:103]
	v_add_f64_e32 v[22:23], v[14:15], v[28:29]
	v_add_f64_e64 v[80:81], v[80:81], -v[84:85]
	v_add_f64_e64 v[82:83], v[82:83], -v[86:87]
	;; [unrolled: 1-line block ×7, first 2 shown]
	v_lshlrev_b64_e32 v[100:101], 4, v[122:123]
	s_wait_loadcnt 0x2
	v_mov_b32_e32 v151, v123
	s_wait_loadcnt 0x1
	v_mov_b32_e32 v149, v123
	;; [unrolled: 2-line block ×3, first 2 shown]
	v_mov_b32_e32 v145, v123
	global_wb scope:SCOPE_SE
	s_barrier_signal -1
	s_barrier_wait -1
	v_add_f64_e32 v[84:85], v[88:89], v[92:93]
	v_add_f64_e32 v[86:87], v[90:91], v[94:95]
	v_add_f64_e64 v[88:89], v[92:93], -v[88:89]
	v_add_f64_e64 v[90:91], v[94:95], -v[90:91]
	v_add_f64_e32 v[92:93], v[36:37], v[52:53]
	v_add_f64_e32 v[94:95], v[38:39], v[54:55]
	v_add_f64_e32 v[102:103], v[40:41], v[48:49]
	v_add_f64_e64 v[28:29], v[36:37], -v[52:53]
	v_add_f64_e64 v[30:31], v[38:39], -v[54:55]
	v_add_f64_e64 v[36:37], v[40:41], -v[48:49]
	global_inv scope:SCOPE_SE
	v_add_f64_e32 v[105:106], v[42:43], v[50:51]
	v_add_f64_e64 v[38:39], v[42:43], -v[50:51]
	v_add_f64_e32 v[50:51], v[98:99], v[26:27]
	v_add_f64_e32 v[76:77], v[64:65], v[68:69]
	;; [unrolled: 1-line block ×5, first 2 shown]
	v_add_f64_e64 v[64:65], v[68:69], -v[64:65]
	v_add_f64_e64 v[66:67], v[70:71], -v[66:67]
	v_add_f64_e32 v[48:49], v[96:97], v[22:23]
	v_add_f64_e32 v[40:41], v[24:25], v[20:21]
	;; [unrolled: 1-line block ×3, first 2 shown]
	v_add_f64_e64 v[20:21], v[20:21], -v[24:25]
	v_add_f64_e64 v[12:13], v[12:13], -v[16:17]
	;; [unrolled: 1-line block ×12, first 2 shown]
	v_add_f64_e32 v[68:69], v[102:103], v[92:93]
	v_add_f64_e32 v[60:61], v[88:89], v[80:81]
	;; [unrolled: 1-line block ×3, first 2 shown]
	v_add_f64_e64 v[80:81], v[80:81], -v[72:73]
	v_add_f64_e64 v[82:83], v[82:83], -v[74:75]
	;; [unrolled: 1-line block ×3, first 2 shown]
	v_add_f64_e32 v[70:71], v[105:106], v[94:95]
	v_add_f64_e64 v[130:131], v[105:106], -v[94:95]
	v_add_f64_e64 v[88:89], v[72:73], -v[88:89]
	;; [unrolled: 1-line block ×5, first 2 shown]
	v_add_f64_e32 v[44:45], v[84:85], v[44:45]
	v_add_f64_e32 v[46:47], v[86:87], v[46:47]
	v_add_f64_e64 v[124:125], v[64:65], -v[32:33]
	v_add_f64_e64 v[126:127], v[66:67], -v[34:35]
	v_add_f64_e32 v[48:49], v[76:77], v[48:49]
	v_add_f64_e32 v[50:51], v[78:79], v[50:51]
	;; [unrolled: 1-line block ×4, first 2 shown]
	v_add_f64_e64 v[32:33], v[32:33], -v[14:15]
	v_add_f64_e64 v[34:35], v[34:35], -v[18:19]
	;; [unrolled: 1-line block ×4, first 2 shown]
	v_add_f64_e32 v[76:77], v[20:21], v[36:37]
	v_add_f64_e32 v[78:79], v[12:13], v[38:39]
	v_add_f64_e64 v[92:93], v[92:93], -v[40:41]
	v_add_f64_e64 v[94:95], v[94:95], -v[42:43]
	;; [unrolled: 1-line block ×8, first 2 shown]
	v_mul_f64_e32 v[52:53], s[10:11], v[52:53]
	v_mul_f64_e32 v[54:55], s[10:11], v[54:55]
	;; [unrolled: 1-line block ×4, first 2 shown]
	v_add_f64_e32 v[40:41], v[40:41], v[68:69]
	v_mul_f64_e32 v[68:69], s[0:1], v[56:57]
	v_add_f64_e32 v[60:61], v[60:61], v[72:73]
	v_add_f64_e32 v[62:63], v[62:63], v[74:75]
	v_mul_f64_e32 v[72:73], s[4:5], v[80:81]
	v_mul_f64_e32 v[74:75], s[4:5], v[82:83]
	v_add_f64_e32 v[42:43], v[42:43], v[70:71]
	v_mul_f64_e32 v[70:71], s[0:1], v[58:59]
	v_add_f64_e64 v[64:65], v[14:15], -v[64:65]
	v_add_f64_e64 v[66:67], v[18:19], -v[66:67]
	v_mul_f64_e32 v[22:23], s[10:11], v[22:23]
	v_mul_f64_e32 v[26:27], s[10:11], v[26:27]
	v_add_f64_e32 v[8:9], v[8:9], v[44:45]
	v_add_f64_e32 v[10:11], v[10:11], v[46:47]
	v_mul_f64_e32 v[124:125], s[14:15], v[124:125]
	v_mul_f64_e32 v[126:127], s[14:15], v[126:127]
	v_add_f64_e32 v[4:5], v[4:5], v[48:49]
	v_add_f64_e32 v[6:7], v[6:7], v[50:51]
	v_add_f64_e32 v[14:15], v[84:85], v[14:15]
	v_add_f64_e32 v[18:19], v[86:87], v[18:19]
	v_mul_f64_e32 v[84:85], s[4:5], v[32:33]
	v_mul_f64_e32 v[86:87], s[4:5], v[34:35]
	;; [unrolled: 1-line block ×4, first 2 shown]
	v_add_f64_e64 v[20:21], v[28:29], -v[20:21]
	v_add_f64_e64 v[12:13], v[30:31], -v[12:13]
	v_add_f64_e32 v[28:29], v[76:77], v[28:29]
	v_add_f64_e32 v[30:31], v[78:79], v[30:31]
	v_mul_f64_e32 v[76:77], s[10:11], v[92:93]
	v_mul_f64_e32 v[78:79], s[10:11], v[94:95]
	;; [unrolled: 1-line block ×8, first 2 shown]
	v_fma_f64 v[56:57], v[56:57], s[0:1], v[52:53]
	v_fma_f64 v[58:59], v[58:59], s[0:1], v[54:55]
	v_add_f64_e32 v[0:1], v[0:1], v[40:41]
	v_fma_f64 v[68:69], v[16:17], s[16:17], -v[68:69]
	s_wait_alu 0xfffe
	v_fma_f64 v[16:17], v[16:17], s[20:21], -v[52:53]
	v_fma_f64 v[52:53], v[88:89], s[22:23], v[107:108]
	v_fma_f64 v[80:81], v[80:81], s[4:5], -v[107:108]
	v_fma_f64 v[82:83], v[82:83], s[4:5], -v[109:110]
	v_add_f64_e32 v[2:3], v[2:3], v[42:43]
	v_fma_f64 v[70:71], v[24:25], s[16:17], -v[70:71]
	v_fma_f64 v[24:25], v[24:25], s[20:21], -v[54:55]
	v_fma_f64 v[54:55], v[90:91], s[22:23], v[109:110]
	v_fma_f64 v[72:73], v[88:89], s[24:25], -v[72:73]
	v_fma_f64 v[74:75], v[90:91], s[24:25], -v[74:75]
	v_fma_f64 v[44:45], v[44:45], s[12:13], v[8:9]
	v_fma_f64 v[46:47], v[46:47], s[12:13], v[10:11]
	;; [unrolled: 1-line block ×8, first 2 shown]
	v_fma_f64 v[64:65], v[64:65], s[24:25], -v[84:85]
	v_fma_f64 v[66:67], v[66:67], s[24:25], -v[86:87]
	;; [unrolled: 1-line block ×8, first 2 shown]
	v_fma_f64 v[84:85], v[102:103], s[0:1], v[76:77]
	v_fma_f64 v[86:87], v[105:106], s[0:1], v[78:79]
	;; [unrolled: 1-line block ×4, first 2 shown]
	v_fma_f64 v[20:21], v[20:21], s[24:25], -v[140:141]
	v_fma_f64 v[12:13], v[12:13], s[24:25], -v[142:143]
	;; [unrolled: 1-line block ×6, first 2 shown]
	v_fma_f64 v[40:41], v[40:41], s[12:13], v[0:1]
	v_fma_f64 v[92:93], v[128:129], s[16:17], -v[132:133]
	v_fma_f64 v[94:95], v[130:131], s[16:17], -v[134:135]
	v_fma_f64 v[52:53], v[60:61], s[18:19], v[52:53]
	v_fma_f64 v[80:81], v[60:61], s[18:19], v[80:81]
	;; [unrolled: 1-line block ×4, first 2 shown]
	v_add_co_u32 v100, s0, s8, v100
	v_fma_f64 v[54:55], v[62:63], s[18:19], v[54:55]
	v_fma_f64 v[60:61], v[60:61], s[18:19], v[72:73]
	;; [unrolled: 1-line block ×3, first 2 shown]
	v_add_f64_e32 v[56:57], v[56:57], v[44:45]
	v_add_f64_e32 v[58:59], v[58:59], v[46:47]
	;; [unrolled: 1-line block ×6, first 2 shown]
	v_fma_f64 v[68:69], v[14:15], s[18:19], v[107:108]
	v_fma_f64 v[70:71], v[18:19], s[18:19], v[109:110]
	v_add_f64_e32 v[88:89], v[88:89], v[48:49]
	v_add_f64_e32 v[90:91], v[90:91], v[50:51]
	v_fma_f64 v[64:65], v[14:15], s[18:19], v[64:65]
	v_fma_f64 v[66:67], v[18:19], s[18:19], v[66:67]
	v_add_f64_e32 v[124:125], v[22:23], v[48:49]
	v_add_f64_e32 v[126:127], v[26:27], v[50:51]
	;; [unrolled: 4-line block ×3, first 2 shown]
	v_fma_f64 v[96:97], v[28:29], s[18:19], v[102:103]
	v_fma_f64 v[98:99], v[30:31], s[18:19], v[105:106]
	;; [unrolled: 1-line block ×4, first 2 shown]
	s_wait_alu 0xf1ff
	v_add_co_ci_u32_e64 v101, s0, s9, v101, s0
	v_fma_f64 v[102:103], v[28:29], s[18:19], v[36:37]
	v_fma_f64 v[105:106], v[30:31], s[18:19], v[38:39]
	v_add_f64_e32 v[84:85], v[84:85], v[40:41]
	v_add_f64_e32 v[76:77], v[76:77], v[40:41]
	v_add_f64_e32 v[92:93], v[92:93], v[40:41]
	s_mov_b32 s5, 0xbfebb67a
	v_add_f64_e32 v[86:87], v[86:87], v[42:43]
	v_add_f64_e32 v[78:79], v[78:79], v[42:43]
	;; [unrolled: 1-line block ×4, first 2 shown]
	v_add_f64_e64 v[14:15], v[58:59], -v[52:53]
	v_add_f64_e32 v[16:17], v[62:63], v[72:73]
	v_add_f64_e64 v[18:19], v[74:75], -v[60:61]
	v_add_f64_e64 v[20:21], v[24:25], -v[82:83]
	v_add_f64_e32 v[22:23], v[80:81], v[44:45]
	v_add_f64_e32 v[24:25], v[82:83], v[24:25]
	v_add_f64_e64 v[26:27], v[44:45], -v[80:81]
	v_add_f64_e64 v[28:29], v[72:73], -v[62:63]
	v_add_f64_e32 v[30:31], v[60:61], v[74:75]
	v_add_f64_e64 v[32:33], v[56:57], -v[54:55]
	v_add_f64_e32 v[34:35], v[52:53], v[58:59]
	v_add_f64_e32 v[36:37], v[70:71], v[88:89]
	v_add_f64_e64 v[38:39], v[90:91], -v[68:69]
	v_add_f64_e32 v[40:41], v[66:67], v[124:125]
	v_add_f64_e64 v[42:43], v[126:127], -v[64:65]
	v_add_f64_e64 v[44:45], v[48:49], -v[109:110]
	v_add_f64_e32 v[46:47], v[107:108], v[50:51]
	v_add_f64_e32 v[48:49], v[109:110], v[48:49]
	v_add_f64_e64 v[50:51], v[50:51], -v[107:108]
	v_add_f64_e64 v[52:53], v[124:125], -v[66:67]
	v_add_f64_e32 v[54:55], v[64:65], v[126:127]
	v_add_f64_e64 v[56:57], v[88:89], -v[70:71]
	v_add_f64_e32 v[58:59], v[68:69], v[90:91]
	v_lshl_add_u32 v90, v104, 4, 0
	v_add_f64_e32 v[60:61], v[98:99], v[84:85]
	v_add_f64_e32 v[64:65], v[130:131], v[76:77]
	v_add_f64_e64 v[68:69], v[92:93], -v[105:106]
	v_add_f64_e32 v[72:73], v[105:106], v[92:93]
	v_add_f64_e64 v[76:77], v[76:77], -v[130:131]
	v_add_f64_e64 v[80:81], v[84:85], -v[98:99]
	v_add_f64_e64 v[62:63], v[86:87], -v[96:97]
	v_add_f64_e64 v[66:67], v[78:79], -v[128:129]
	v_add_f64_e32 v[70:71], v[102:103], v[94:95]
	v_add_f64_e64 v[74:75], v[94:95], -v[102:103]
	v_add_f64_e32 v[78:79], v[128:129], v[78:79]
	v_add_f64_e32 v[82:83], v[96:97], v[86:87]
	ds_store_b128 v215, v[8:11]
	ds_store_b128 v215, v[12:15] offset:832
	ds_store_b128 v215, v[16:19] offset:1664
	;; [unrolled: 1-line block ×20, first 2 shown]
	global_wb scope:SCOPE_SE
	s_wait_dscnt 0x0
	s_barrier_signal -1
	s_barrier_wait -1
	global_inv scope:SCOPE_SE
	v_lshlrev_b64_e32 v[138:139], 4, v[144:145]
	v_lshlrev_b64_e32 v[111:112], 4, v[154:155]
	;; [unrolled: 1-line block ×6, first 2 shown]
	v_add_co_u32 v84, s0, s8, v111
	s_wait_alu 0xf1ff
	v_add_co_ci_u32_e64 v85, s0, s9, v112, s0
	v_add_co_u32 v86, s0, s8, v113
	s_wait_alu 0xf1ff
	v_add_co_ci_u32_e64 v87, s0, s9, v114, s0
	;; [unrolled: 3-line block ×3, first 2 shown]
	v_add_co_u32 v36, s0, s8, v134
	s_clause 0x3
	global_load_b128 v[0:3], v[100:101], off offset:5808
	global_load_b128 v[4:7], v[100:101], off offset:5792
	;; [unrolled: 1-line block ×4, first 2 shown]
	s_wait_alu 0xf1ff
	v_add_co_ci_u32_e64 v37, s0, s9, v135, s0
	v_add_co_u32 v44, s0, s8, v136
	s_clause 0x3
	global_load_b128 v[16:19], v[86:87], off offset:5808
	global_load_b128 v[20:23], v[86:87], off offset:5792
	global_load_b128 v[24:27], v[88:89], off offset:5808
	global_load_b128 v[28:31], v[88:89], off offset:5792
	s_wait_alu 0xf1ff
	v_add_co_ci_u32_e64 v45, s0, s9, v137, s0
	v_add_co_u32 v52, s0, s8, v138
	s_clause 0x1
	global_load_b128 v[32:35], v[36:37], off offset:5808
	global_load_b128 v[36:39], v[36:37], off offset:5792
	s_wait_alu 0xf1ff
	v_add_co_ci_u32_e64 v53, s0, s9, v139, s0
	s_clause 0x3
	global_load_b128 v[40:43], v[44:45], off offset:5792
	global_load_b128 v[44:47], v[44:45], off offset:5808
	;; [unrolled: 1-line block ×4, first 2 shown]
	ds_load_b128 v[56:59], v215 offset:5824
	ds_load_b128 v[60:63], v215 offset:11648
	;; [unrolled: 1-line block ×15, first 2 shown]
	s_mov_b32 s0, 0xe8584caa
	s_mov_b32 s1, 0x3febb67a
	s_wait_alu 0xfffe
	s_mov_b32 s4, s0
	s_wait_loadcnt_dscnt 0xd0d
	v_mul_f64_e32 v[126:127], v[62:63], v[2:3]
	s_wait_loadcnt 0xc
	v_mul_f64_e32 v[124:125], v[58:59], v[6:7]
	v_mul_f64_e32 v[6:7], v[56:57], v[6:7]
	;; [unrolled: 1-line block ×3, first 2 shown]
	s_wait_loadcnt_dscnt 0xa0c
	v_mul_f64_e32 v[128:129], v[66:67], v[14:15]
	v_mul_f64_e32 v[14:15], v[64:65], v[14:15]
	s_wait_dscnt 0xb
	v_mul_f64_e32 v[130:131], v[70:71], v[10:11]
	v_mul_f64_e32 v[10:11], v[68:69], v[10:11]
	s_wait_loadcnt_dscnt 0x80a
	v_mul_f64_e32 v[132:133], v[74:75], v[22:23]
	v_mul_f64_e32 v[22:23], v[72:73], v[22:23]
	s_wait_dscnt 0x9
	v_mul_f64_e32 v[134:135], v[78:79], v[18:19]
	v_mul_f64_e32 v[18:19], v[76:77], v[18:19]
	s_wait_loadcnt_dscnt 0x607
	v_mul_f64_e32 v[136:137], v[86:87], v[30:31]
	v_mul_f64_e32 v[138:139], v[82:83], v[26:27]
	;; [unrolled: 1-line block ×4, first 2 shown]
	s_wait_loadcnt_dscnt 0x406
	v_mul_f64_e32 v[140:141], v[90:91], v[38:39]
	s_wait_dscnt 0x5
	v_mul_f64_e32 v[142:143], v[94:95], v[34:35]
	v_mul_f64_e32 v[38:39], v[88:89], v[38:39]
	;; [unrolled: 1-line block ×3, first 2 shown]
	s_wait_loadcnt_dscnt 0x302
	v_mul_f64_e32 v[144:145], v[106:107], v[42:43]
	s_wait_loadcnt 0x2
	v_mul_f64_e32 v[146:147], v[98:99], v[46:47]
	v_mul_f64_e32 v[42:43], v[104:105], v[42:43]
	;; [unrolled: 1-line block ×3, first 2 shown]
	s_wait_loadcnt_dscnt 0x101
	v_mul_f64_e32 v[148:149], v[110:111], v[50:51]
	s_wait_loadcnt_dscnt 0x0
	v_mul_f64_e32 v[150:151], v[114:115], v[54:55]
	v_mul_f64_e32 v[50:51], v[108:109], v[50:51]
	;; [unrolled: 1-line block ×3, first 2 shown]
	v_fma_f64 v[60:61], v[60:61], v[0:1], -v[126:127]
	v_fma_f64 v[56:57], v[56:57], v[4:5], -v[124:125]
	v_fma_f64 v[58:59], v[58:59], v[4:5], v[6:7]
	v_fma_f64 v[62:63], v[62:63], v[0:1], v[2:3]
	v_fma_f64 v[64:65], v[64:65], v[12:13], -v[128:129]
	v_fma_f64 v[66:67], v[66:67], v[12:13], v[14:15]
	v_fma_f64 v[68:69], v[68:69], v[8:9], -v[130:131]
	;; [unrolled: 2-line block ×5, first 2 shown]
	v_fma_f64 v[80:81], v[80:81], v[24:25], -v[138:139]
	v_fma_f64 v[28:29], v[86:87], v[28:29], v[30:31]
	v_fma_f64 v[24:25], v[82:83], v[24:25], v[26:27]
	v_fma_f64 v[26:27], v[88:89], v[36:37], -v[140:141]
	v_fma_f64 v[30:31], v[92:93], v[32:33], -v[142:143]
	v_fma_f64 v[36:37], v[90:91], v[36:37], v[38:39]
	v_fma_f64 v[32:33], v[94:95], v[32:33], v[34:35]
	v_fma_f64 v[34:35], v[104:105], v[40:41], -v[144:145]
	;; [unrolled: 4-line block ×3, first 2 shown]
	v_fma_f64 v[46:47], v[112:113], v[52:53], -v[150:151]
	v_fma_f64 v[48:49], v[110:111], v[48:49], v[50:51]
	v_fma_f64 v[50:51], v[114:115], v[52:53], v[54:55]
	ds_load_b128 v[0:3], v215
	ds_load_b128 v[4:7], v215 offset:832
	ds_load_b128 v[8:11], v215 offset:1664
	;; [unrolled: 1-line block ×5, first 2 shown]
	global_wb scope:SCOPE_SE
	s_wait_dscnt 0x0
	s_barrier_signal -1
	s_barrier_wait -1
	global_inv scope:SCOPE_SE
	v_add_f64_e32 v[52:53], v[56:57], v[60:61]
	v_add_f64_e32 v[54:55], v[58:59], v[62:63]
	v_add_f64_e64 v[98:99], v[58:59], -v[62:63]
	v_add_f64_e32 v[82:83], v[64:65], v[68:69]
	v_add_f64_e32 v[86:87], v[66:67], v[70:71]
	v_add_f64_e64 v[114:115], v[66:67], -v[70:71]
	v_add_f64_e32 v[88:89], v[72:73], v[76:77]
	v_add_f64_e32 v[90:91], v[74:75], v[78:79]
	;; [unrolled: 1-line block ×22, first 2 shown]
	v_add_f64_e64 v[56:57], v[56:57], -v[60:61]
	v_add_f64_e64 v[64:65], v[64:65], -v[68:69]
	v_add_f64_e32 v[144:145], v[100:101], v[44:45]
	v_add_f64_e64 v[74:75], v[74:75], -v[78:79]
	v_add_f64_e64 v[72:73], v[72:73], -v[76:77]
	v_add_f64_e32 v[146:147], v[102:103], v[48:49]
	v_add_f64_e64 v[148:149], v[28:29], -v[24:25]
	v_fma_f64 v[52:53], v[52:53], -0.5, v[0:1]
	v_add_f64_e64 v[84:85], v[84:85], -v[80:81]
	v_fma_f64 v[54:55], v[54:55], -0.5, v[2:3]
	v_add_f64_e64 v[150:151], v[36:37], -v[32:33]
	v_add_f64_e64 v[152:153], v[26:27], -v[30:31]
	v_fma_f64 v[82:83], v[82:83], -0.5, v[4:5]
	v_fma_f64 v[86:87], v[86:87], -0.5, v[6:7]
	v_add_f64_e64 v[154:155], v[40:41], -v[42:43]
	v_add_f64_e64 v[156:157], v[34:35], -v[38:39]
	v_fma_f64 v[88:89], v[88:89], -0.5, v[8:9]
	v_fma_f64 v[90:91], v[90:91], -0.5, v[10:11]
	v_add_f64_e32 v[0:1], v[94:95], v[60:61]
	v_fma_f64 v[92:93], v[92:93], -0.5, v[12:13]
	v_add_f64_e64 v[158:159], v[48:49], -v[50:51]
	v_fma_f64 v[96:97], v[96:97], -0.5, v[14:15]
	v_add_f64_e64 v[160:161], v[44:45], -v[46:47]
	v_fma_f64 v[104:105], v[104:105], -0.5, v[16:17]
	v_add_f64_e32 v[2:3], v[58:59], v[62:63]
	v_fma_f64 v[106:107], v[106:107], -0.5, v[18:19]
	v_add_f64_e32 v[4:5], v[110:111], v[68:69]
	v_fma_f64 v[108:109], v[108:109], -0.5, v[20:21]
	v_add_f64_e32 v[6:7], v[66:67], v[70:71]
	v_fma_f64 v[94:95], v[112:113], -0.5, v[22:23]
	v_add_f64_e32 v[8:9], v[128:129], v[76:77]
	v_fma_f64 v[100:101], v[124:125], -0.5, v[100:101]
	v_add_f64_e32 v[10:11], v[130:131], v[78:79]
	v_fma_f64 v[102:103], v[126:127], -0.5, v[102:103]
	v_add_f64_e32 v[12:13], v[132:133], v[80:81]
	v_add_f64_e32 v[14:15], v[134:135], v[24:25]
	v_add_f64_e32 v[16:17], v[136:137], v[30:31]
	;; [unrolled: 1-line block ×7, first 2 shown]
	s_wait_alu 0xfffe
	v_fma_f64 v[32:33], v[98:99], s[4:5], v[52:53]
	v_fma_f64 v[28:29], v[98:99], s[0:1], v[52:53]
	;; [unrolled: 1-line block ×28, first 2 shown]
	ds_store_b128 v215, v[0:3]
	ds_store_b128 v215, v[4:7] offset:832
	ds_store_b128 v215, v[8:11] offset:1664
	ds_store_b128 v215, v[12:15] offset:2496
	ds_store_b128 v215, v[16:19] offset:3328
	ds_store_b128 v215, v[20:23] offset:4160
	ds_store_b128 v215, v[32:35] offset:11648
	ds_store_b128 v215, v[40:43] offset:12480
	ds_store_b128 v215, v[36:39] offset:6656
	ds_store_b128 v215, v[44:47] offset:7488
	ds_store_b128 v215, v[48:51] offset:13312
	ds_store_b128 v215, v[56:59] offset:14144
	ds_store_b128 v215, v[52:55] offset:8320
	ds_store_b128 v215, v[60:63] offset:9152
	ds_store_b128 v215, v[64:67] offset:14976
	ds_store_b128 v215, v[72:75] offset:15808
	ds_store_b128 v215, v[28:31] offset:5824
	ds_store_b128 v215, v[24:27] offset:4992
	ds_store_b128 v215, v[68:71] offset:9984
	ds_store_b128 v215, v[76:79] offset:10816
	ds_store_b128 v215, v[80:83] offset:16640
	global_wb scope:SCOPE_SE
	s_wait_dscnt 0x0
	s_barrier_signal -1
	s_barrier_wait -1
	global_inv scope:SCOPE_SE
	s_and_saveexec_b32 s0, vcc_lo
	s_cbranch_execz .LBB0_33
; %bb.32:
	v_mul_lo_u32 v2, s3, v120
	v_mul_lo_u32 v3, s2, v121
	v_mad_co_u64_u32 v[0:1], null, s2, v120, 0
	v_dual_mov_b32 v119, v123 :: v_dual_add_nc_u32 v122, 52, v118
	v_lshlrev_b64_e32 v[8:9], 4, v[116:117]
	v_lshl_add_u32 v26, v118, 4, 0
	s_delay_alu instid0(VALU_DEP_3) | instskip(SKIP_3) | instid1(VALU_DEP_3)
	v_lshlrev_b64_e32 v[10:11], 4, v[118:119]
	v_add3_u32 v1, v1, v3, v2
	v_lshlrev_b64_e32 v[16:17], 4, v[122:123]
	v_add_nc_u32_e32 v122, 0x68, v118
	v_lshlrev_b64_e32 v[12:13], 4, v[0:1]
	ds_load_b128 v[0:3], v26
	ds_load_b128 v[4:7], v26 offset:832
	v_lshlrev_b64_e32 v[18:19], 4, v[122:123]
	v_add_nc_u32_e32 v122, 0x9c, v118
	v_add_co_u32 v12, vcc_lo, s6, v12
	s_wait_alu 0xfffd
	v_add_co_ci_u32_e32 v13, vcc_lo, s7, v13, vcc_lo
	s_delay_alu instid0(VALU_DEP_3) | instskip(NEXT) | instid1(VALU_DEP_3)
	v_lshlrev_b64_e32 v[22:23], 4, v[122:123]
	v_add_co_u32 v30, vcc_lo, v12, v8
	s_wait_alu 0xfffd
	s_delay_alu instid0(VALU_DEP_3) | instskip(SKIP_1) | instid1(VALU_DEP_3)
	v_add_co_ci_u32_e32 v31, vcc_lo, v13, v9, vcc_lo
	v_add_nc_u32_e32 v122, 0xd0, v118
	v_add_co_u32 v20, vcc_lo, v30, v10
	s_wait_alu 0xfffd
	s_delay_alu instid0(VALU_DEP_3)
	v_add_co_ci_u32_e32 v21, vcc_lo, v31, v11, vcc_lo
	ds_load_b128 v[8:11], v26 offset:1664
	ds_load_b128 v[12:15], v26 offset:2496
	v_add_co_u32 v16, vcc_lo, v30, v16
	s_wait_alu 0xfffd
	v_add_co_ci_u32_e32 v17, vcc_lo, v31, v17, vcc_lo
	v_add_co_u32 v18, vcc_lo, v30, v18
	s_wait_alu 0xfffd
	v_add_co_ci_u32_e32 v19, vcc_lo, v31, v19, vcc_lo
	v_add_co_u32 v22, vcc_lo, v30, v22
	v_lshlrev_b64_e32 v[24:25], 4, v[122:123]
	v_add_nc_u32_e32 v122, 0x104, v118
	s_wait_alu 0xfffd
	v_add_co_ci_u32_e32 v23, vcc_lo, v31, v23, vcc_lo
	s_wait_dscnt 0x3
	global_store_b128 v[20:21], v[0:3], off
	s_wait_dscnt 0x2
	global_store_b128 v[16:17], v[4:7], off
	;; [unrolled: 2-line block ×4, first 2 shown]
	v_lshlrev_b64_e32 v[16:17], 4, v[122:123]
	v_add_nc_u32_e32 v122, 0x138, v118
	ds_load_b128 v[0:3], v26 offset:3328
	ds_load_b128 v[4:7], v26 offset:4160
	;; [unrolled: 1-line block ×4, first 2 shown]
	v_add_co_u32 v18, vcc_lo, v30, v24
	v_lshlrev_b64_e32 v[20:21], 4, v[122:123]
	v_add_nc_u32_e32 v122, 0x16c, v118
	s_wait_alu 0xfffd
	v_add_co_ci_u32_e32 v19, vcc_lo, v31, v25, vcc_lo
	v_add_co_u32 v16, vcc_lo, v30, v16
	s_delay_alu instid0(VALU_DEP_3)
	v_lshlrev_b64_e32 v[22:23], 4, v[122:123]
	v_add_nc_u32_e32 v122, 0x1a0, v118
	s_wait_alu 0xfffd
	v_add_co_ci_u32_e32 v17, vcc_lo, v31, v17, vcc_lo
	v_add_co_u32 v20, vcc_lo, v30, v20
	s_wait_alu 0xfffd
	v_add_co_ci_u32_e32 v21, vcc_lo, v31, v21, vcc_lo
	v_add_co_u32 v22, vcc_lo, v30, v22
	v_lshlrev_b64_e32 v[24:25], 4, v[122:123]
	v_add_nc_u32_e32 v122, 0x1d4, v118
	s_wait_alu 0xfffd
	v_add_co_ci_u32_e32 v23, vcc_lo, v31, v23, vcc_lo
	s_wait_dscnt 0x3
	global_store_b128 v[18:19], v[0:3], off
	s_wait_dscnt 0x2
	global_store_b128 v[16:17], v[4:7], off
	;; [unrolled: 2-line block ×4, first 2 shown]
	ds_load_b128 v[0:3], v26 offset:6656
	ds_load_b128 v[4:7], v26 offset:7488
	v_lshlrev_b64_e32 v[16:17], 4, v[122:123]
	v_add_nc_u32_e32 v122, 0x208, v118
	ds_load_b128 v[8:11], v26 offset:8320
	ds_load_b128 v[12:15], v26 offset:9152
	v_add_co_u32 v18, vcc_lo, v30, v24
	s_wait_alu 0xfffd
	v_add_co_ci_u32_e32 v19, vcc_lo, v31, v25, vcc_lo
	v_lshlrev_b64_e32 v[20:21], 4, v[122:123]
	v_add_nc_u32_e32 v122, 0x23c, v118
	v_add_co_u32 v16, vcc_lo, v30, v16
	s_wait_alu 0xfffd
	v_add_co_ci_u32_e32 v17, vcc_lo, v31, v17, vcc_lo
	s_delay_alu instid0(VALU_DEP_3) | instskip(SKIP_4) | instid1(VALU_DEP_4)
	v_lshlrev_b64_e32 v[22:23], 4, v[122:123]
	v_add_nc_u32_e32 v122, 0x270, v118
	v_add_co_u32 v20, vcc_lo, v30, v20
	s_wait_alu 0xfffd
	v_add_co_ci_u32_e32 v21, vcc_lo, v31, v21, vcc_lo
	v_add_co_u32 v22, vcc_lo, v30, v22
	v_lshlrev_b64_e32 v[24:25], 4, v[122:123]
	v_add_nc_u32_e32 v122, 0x2a4, v118
	s_wait_alu 0xfffd
	v_add_co_ci_u32_e32 v23, vcc_lo, v31, v23, vcc_lo
	s_wait_dscnt 0x3
	global_store_b128 v[18:19], v[0:3], off
	s_wait_dscnt 0x2
	global_store_b128 v[16:17], v[4:7], off
	;; [unrolled: 2-line block ×4, first 2 shown]
	ds_load_b128 v[0:3], v26 offset:9984
	ds_load_b128 v[4:7], v26 offset:10816
	v_lshlrev_b64_e32 v[16:17], 4, v[122:123]
	v_add_nc_u32_e32 v122, 0x2d8, v118
	ds_load_b128 v[8:11], v26 offset:11648
	ds_load_b128 v[12:15], v26 offset:12480
	v_add_co_u32 v18, vcc_lo, v30, v24
	s_wait_alu 0xfffd
	v_add_co_ci_u32_e32 v19, vcc_lo, v31, v25, vcc_lo
	v_lshlrev_b64_e32 v[20:21], 4, v[122:123]
	v_add_nc_u32_e32 v122, 0x30c, v118
	v_add_co_u32 v16, vcc_lo, v30, v16
	s_wait_alu 0xfffd
	v_add_co_ci_u32_e32 v17, vcc_lo, v31, v17, vcc_lo
	s_delay_alu instid0(VALU_DEP_3) | instskip(SKIP_4) | instid1(VALU_DEP_3)
	v_lshlrev_b64_e32 v[22:23], 4, v[122:123]
	v_add_nc_u32_e32 v122, 0x340, v118
	v_add_co_u32 v20, vcc_lo, v30, v20
	s_wait_alu 0xfffd
	v_add_co_ci_u32_e32 v21, vcc_lo, v31, v21, vcc_lo
	v_lshlrev_b64_e32 v[24:25], 4, v[122:123]
	v_add_nc_u32_e32 v122, 0x374, v118
	v_add_co_u32 v22, vcc_lo, v30, v22
	s_wait_alu 0xfffd
	v_add_co_ci_u32_e32 v23, vcc_lo, v31, v23, vcc_lo
	s_wait_dscnt 0x3
	global_store_b128 v[18:19], v[0:3], off
	s_wait_dscnt 0x2
	global_store_b128 v[16:17], v[4:7], off
	;; [unrolled: 2-line block ×4, first 2 shown]
	v_lshlrev_b64_e32 v[8:9], 4, v[122:123]
	v_add_co_u32 v20, vcc_lo, v30, v24
	v_add_nc_u32_e32 v122, 0x3a8, v118
	s_wait_alu 0xfffd
	v_add_co_ci_u32_e32 v21, vcc_lo, v31, v25, vcc_lo
	s_delay_alu instid0(VALU_DEP_4)
	v_add_co_u32 v24, vcc_lo, v30, v8
	ds_load_b128 v[0:3], v26 offset:13312
	ds_load_b128 v[4:7], v26 offset:14144
	s_wait_alu 0xfffd
	v_add_co_ci_u32_e32 v25, vcc_lo, v31, v9, vcc_lo
	ds_load_b128 v[8:11], v26 offset:14976
	ds_load_b128 v[12:15], v26 offset:15808
	;; [unrolled: 1-line block ×3, first 2 shown]
	v_lshlrev_b64_e32 v[22:23], 4, v[122:123]
	v_add_nc_u32_e32 v122, 0x3dc, v118
	s_delay_alu instid0(VALU_DEP_1) | instskip(SKIP_1) | instid1(VALU_DEP_4)
	v_lshlrev_b64_e32 v[26:27], 4, v[122:123]
	v_add_nc_u32_e32 v122, 0x410, v118
	v_add_co_u32 v22, vcc_lo, v30, v22
	s_wait_alu 0xfffd
	v_add_co_ci_u32_e32 v23, vcc_lo, v31, v23, vcc_lo
	s_delay_alu instid0(VALU_DEP_3) | instskip(SKIP_3) | instid1(VALU_DEP_3)
	v_lshlrev_b64_e32 v[28:29], 4, v[122:123]
	v_add_co_u32 v26, vcc_lo, v30, v26
	s_wait_alu 0xfffd
	v_add_co_ci_u32_e32 v27, vcc_lo, v31, v27, vcc_lo
	v_add_co_u32 v28, vcc_lo, v30, v28
	s_wait_alu 0xfffd
	v_add_co_ci_u32_e32 v29, vcc_lo, v31, v29, vcc_lo
	s_wait_dscnt 0x4
	global_store_b128 v[20:21], v[0:3], off
	s_wait_dscnt 0x3
	global_store_b128 v[24:25], v[4:7], off
	;; [unrolled: 2-line block ×5, first 2 shown]
.LBB0_33:
	s_nop 0
	s_sendmsg sendmsg(MSG_DEALLOC_VGPRS)
	s_endpgm
	.section	.rodata,"a",@progbits
	.p2align	6, 0x0
	.amdhsa_kernel fft_rtc_fwd_len1092_factors_2_2_13_7_3_wgs_52_tpt_52_halfLds_dp_op_CI_CI_unitstride_sbrr_C2R_dirReg
		.amdhsa_group_segment_fixed_size 0
		.amdhsa_private_segment_fixed_size 252
		.amdhsa_kernarg_size 104
		.amdhsa_user_sgpr_count 2
		.amdhsa_user_sgpr_dispatch_ptr 0
		.amdhsa_user_sgpr_queue_ptr 0
		.amdhsa_user_sgpr_kernarg_segment_ptr 1
		.amdhsa_user_sgpr_dispatch_id 0
		.amdhsa_user_sgpr_private_segment_size 0
		.amdhsa_wavefront_size32 1
		.amdhsa_uses_dynamic_stack 0
		.amdhsa_enable_private_segment 1
		.amdhsa_system_sgpr_workgroup_id_x 1
		.amdhsa_system_sgpr_workgroup_id_y 0
		.amdhsa_system_sgpr_workgroup_id_z 0
		.amdhsa_system_sgpr_workgroup_info 0
		.amdhsa_system_vgpr_workitem_id 0
		.amdhsa_next_free_vgpr 256
		.amdhsa_next_free_sgpr 46
		.amdhsa_reserve_vcc 1
		.amdhsa_float_round_mode_32 0
		.amdhsa_float_round_mode_16_64 0
		.amdhsa_float_denorm_mode_32 3
		.amdhsa_float_denorm_mode_16_64 3
		.amdhsa_fp16_overflow 0
		.amdhsa_workgroup_processor_mode 1
		.amdhsa_memory_ordered 1
		.amdhsa_forward_progress 0
		.amdhsa_round_robin_scheduling 0
		.amdhsa_exception_fp_ieee_invalid_op 0
		.amdhsa_exception_fp_denorm_src 0
		.amdhsa_exception_fp_ieee_div_zero 0
		.amdhsa_exception_fp_ieee_overflow 0
		.amdhsa_exception_fp_ieee_underflow 0
		.amdhsa_exception_fp_ieee_inexact 0
		.amdhsa_exception_int_div_zero 0
	.end_amdhsa_kernel
	.text
.Lfunc_end0:
	.size	fft_rtc_fwd_len1092_factors_2_2_13_7_3_wgs_52_tpt_52_halfLds_dp_op_CI_CI_unitstride_sbrr_C2R_dirReg, .Lfunc_end0-fft_rtc_fwd_len1092_factors_2_2_13_7_3_wgs_52_tpt_52_halfLds_dp_op_CI_CI_unitstride_sbrr_C2R_dirReg
                                        ; -- End function
	.section	.AMDGPU.csdata,"",@progbits
; Kernel info:
; codeLenInByte = 20100
; NumSgprs: 48
; NumVgprs: 256
; ScratchSize: 252
; MemoryBound: 0
; FloatMode: 240
; IeeeMode: 1
; LDSByteSize: 0 bytes/workgroup (compile time only)
; SGPRBlocks: 5
; VGPRBlocks: 31
; NumSGPRsForWavesPerEU: 48
; NumVGPRsForWavesPerEU: 256
; Occupancy: 5
; WaveLimiterHint : 1
; COMPUTE_PGM_RSRC2:SCRATCH_EN: 1
; COMPUTE_PGM_RSRC2:USER_SGPR: 2
; COMPUTE_PGM_RSRC2:TRAP_HANDLER: 0
; COMPUTE_PGM_RSRC2:TGID_X_EN: 1
; COMPUTE_PGM_RSRC2:TGID_Y_EN: 0
; COMPUTE_PGM_RSRC2:TGID_Z_EN: 0
; COMPUTE_PGM_RSRC2:TIDIG_COMP_CNT: 0
	.text
	.p2alignl 7, 3214868480
	.fill 96, 4, 3214868480
	.type	__hip_cuid_668f1c96537750a4,@object ; @__hip_cuid_668f1c96537750a4
	.section	.bss,"aw",@nobits
	.globl	__hip_cuid_668f1c96537750a4
__hip_cuid_668f1c96537750a4:
	.byte	0                               ; 0x0
	.size	__hip_cuid_668f1c96537750a4, 1

	.ident	"AMD clang version 19.0.0git (https://github.com/RadeonOpenCompute/llvm-project roc-6.4.0 25133 c7fe45cf4b819c5991fe208aaa96edf142730f1d)"
	.section	".note.GNU-stack","",@progbits
	.addrsig
	.addrsig_sym __hip_cuid_668f1c96537750a4
	.amdgpu_metadata
---
amdhsa.kernels:
  - .args:
      - .actual_access:  read_only
        .address_space:  global
        .offset:         0
        .size:           8
        .value_kind:     global_buffer
      - .offset:         8
        .size:           8
        .value_kind:     by_value
      - .actual_access:  read_only
        .address_space:  global
        .offset:         16
        .size:           8
        .value_kind:     global_buffer
      - .actual_access:  read_only
        .address_space:  global
        .offset:         24
        .size:           8
        .value_kind:     global_buffer
      - .actual_access:  read_only
        .address_space:  global
        .offset:         32
        .size:           8
        .value_kind:     global_buffer
      - .offset:         40
        .size:           8
        .value_kind:     by_value
      - .actual_access:  read_only
        .address_space:  global
        .offset:         48
        .size:           8
        .value_kind:     global_buffer
      - .actual_access:  read_only
        .address_space:  global
        .offset:         56
        .size:           8
        .value_kind:     global_buffer
      - .offset:         64
        .size:           4
        .value_kind:     by_value
      - .actual_access:  read_only
        .address_space:  global
        .offset:         72
        .size:           8
        .value_kind:     global_buffer
      - .actual_access:  read_only
        .address_space:  global
        .offset:         80
        .size:           8
        .value_kind:     global_buffer
      - .actual_access:  read_only
        .address_space:  global
        .offset:         88
        .size:           8
        .value_kind:     global_buffer
      - .actual_access:  write_only
        .address_space:  global
        .offset:         96
        .size:           8
        .value_kind:     global_buffer
    .group_segment_fixed_size: 0
    .kernarg_segment_align: 8
    .kernarg_segment_size: 104
    .language:       OpenCL C
    .language_version:
      - 2
      - 0
    .max_flat_workgroup_size: 52
    .name:           fft_rtc_fwd_len1092_factors_2_2_13_7_3_wgs_52_tpt_52_halfLds_dp_op_CI_CI_unitstride_sbrr_C2R_dirReg
    .private_segment_fixed_size: 252
    .sgpr_count:     48
    .sgpr_spill_count: 0
    .symbol:         fft_rtc_fwd_len1092_factors_2_2_13_7_3_wgs_52_tpt_52_halfLds_dp_op_CI_CI_unitstride_sbrr_C2R_dirReg.kd
    .uniform_work_group_size: 1
    .uses_dynamic_stack: false
    .vgpr_count:     256
    .vgpr_spill_count: 78
    .wavefront_size: 32
    .workgroup_processor_mode: 1
amdhsa.target:   amdgcn-amd-amdhsa--gfx1201
amdhsa.version:
  - 1
  - 2
...

	.end_amdgpu_metadata
